;; amdgpu-corpus repo=ROCm/MIOpen kind=compiled arch=gfx1100 opt=O3
	.text
	.amdgcn_target "amdgcn-amd-amdhsa--gfx1100"
	.amdhsa_code_object_version 6
	.protected	AdamContiguous          ; -- Begin function AdamContiguous
	.globl	AdamContiguous
	.p2align	8
	.type	AdamContiguous,@function
AdamContiguous:                         ; @AdamContiguous
; %bb.0:
	s_clause 0x1
	s_load_b32 s2, s[0:1], 0x7c
	s_load_b64 s[28:29], s[0:1], 0x68
	s_add_u32 s12, s0, 0x70
	s_addc_u32 s13, s1, 0
	s_waitcnt lgkmcnt(0)
	s_and_b32 s81, s2, 0xffff
	s_mov_b32 s2, exec_lo
	v_mad_u64_u32 v[1:2], null, s15, s81, v[0:1]
	v_mov_b32_e32 v2, 0
	s_delay_alu instid0(VALU_DEP_1)
	v_cmpx_gt_u64_e64 s[28:29], v[1:2]
	s_cbranch_execz .LBB0_11
; %bb.1:
	s_load_b256 s[20:27], s[0:1], 0x48
	s_mov_b32 s14, 0x55555555
	s_mov_b32 s15, 0x3fe55555
	s_load_b32 s7, s[0:1], 0x60
	s_waitcnt lgkmcnt(0)
	s_mov_b32 s27, 0
	s_mov_b32 s16, 0x968915a9
	;; [unrolled: 1-line block ×16, first 2 shown]
	v_cvt_f64_u32_e32 v[5:6], s25
	v_cmp_neq_f32_e64 vcc_lo, s22, 1.0
	v_cvt_f64_f32_e32 v[3:4], s22
	s_bitcmp1_b32 s26, 0
	s_mov_b32 s42, 0x924920da
	s_cselect_b32 s25, -1, 0
	s_bitcmp1_b32 s7, 8
	s_mov_b32 s43, 0x3fd24924
	s_cselect_b32 s33, -1, 0
	;; [unrolled: 3-line block ×3, first 2 shown]
	s_mov_b32 s45, 0x3fd99999
	s_xor_b32 s80, s7, -1
	s_mov_b32 s49, 0xbfe55555
	s_mov_b32 s48, s14
	;; [unrolled: 1-line block ×24, first 2 shown]
	v_cndmask_b32_e32 v8, 0x3ff00000, v6, vcc_lo
	v_cndmask_b32_e32 v7, 0, v5, vcc_lo
	s_mov_b32 s70, 0x1852b7b0
	s_mov_b32 s71, 0x3f56c16c
	;; [unrolled: 1-line block ×4, first 2 shown]
	v_cmp_neq_f64_e32 vcc_lo, 0, v[7:8]
	v_mul_f64 v[9:10], v[7:8], 0.5
	v_trunc_f64_e32 v[11:12], v[7:8]
	s_mov_b32 s74, 0x555502a1
	s_mov_b32 s75, 0x3fa55555
	s_mov_b32 s76, 0x55555511
	s_mov_b32 s77, 0x3fc55555
	s_mov_b32 s78, 11
	s_mov_b32 s79, 0x3fe00000
	s_mov_b32 s82, s27
	v_cndmask_b32_e32 v4, 0x3ff00000, v4, vcc_lo
	v_cndmask_b32_e32 v3, 0, v3, vcc_lo
	s_delay_alu instid0(VALU_DEP_4) | instskip(NEXT) | instid1(VALU_DEP_4)
	v_trunc_f64_e32 v[13:14], v[9:10]
	v_cmp_eq_f64_e64 s3, v[11:12], v[7:8]
	s_delay_alu instid0(VALU_DEP_3)
	v_frexp_mant_f64_e64 v[15:16], |v[3:4]|
	v_cmp_class_f64_e64 s6, v[3:4], 0x204
	v_cmp_eq_f64_e64 s2, 0, v[3:4]
	v_frexp_exp_i32_f64_e32 v0, v[3:4]
	v_cmp_neq_f64_e64 s4, v[13:14], v[9:10]
	v_cmp_gt_f64_e64 s5, s[14:15], v[15:16]
	s_delay_alu instid0(VALU_DEP_4) | instskip(SKIP_2) | instid1(VALU_DEP_2)
	s_or_b32 vcc_lo, s6, s2
	s_and_b32 s2, s2, exec_lo
	s_cselect_b32 s11, 0, 0x7ff00000
	s_and_b32 s2, s3, s4
	s_delay_alu instid0(VALU_DEP_1) | instskip(SKIP_1) | instid1(VALU_DEP_3)
	s_and_b32 s3, s5, exec_lo
	s_cselect_b32 s9, 2.0, 0x3ff00000
	v_subrev_co_ci_u32_e64 v0, s6, 0, v0, s5
	v_mul_f64 v[9:10], v[15:16], s[8:9]
	s_delay_alu instid0(VALU_DEP_1) | instskip(SKIP_1) | instid1(VALU_DEP_2)
	v_add_f64 v[11:12], v[9:10], 1.0
	v_add_f64 v[17:18], v[9:10], -1.0
	v_rcp_f64_e32 v[13:14], v[11:12]
	v_add_f64 v[19:20], v[11:12], -1.0
	s_delay_alu instid0(VALU_DEP_1) | instskip(SKIP_2) | instid1(VALU_DEP_1)
	v_add_f64 v[9:10], v[9:10], -v[19:20]
	s_waitcnt_depctr 0xfff
	v_fma_f64 v[15:16], -v[11:12], v[13:14], 1.0
	v_fma_f64 v[13:14], v[15:16], v[13:14], v[13:14]
	s_delay_alu instid0(VALU_DEP_1) | instskip(NEXT) | instid1(VALU_DEP_1)
	v_fma_f64 v[15:16], -v[11:12], v[13:14], 1.0
	v_fma_f64 v[13:14], v[15:16], v[13:14], v[13:14]
	s_delay_alu instid0(VALU_DEP_1) | instskip(NEXT) | instid1(VALU_DEP_1)
	v_mul_f64 v[15:16], v[17:18], v[13:14]
	v_mul_f64 v[21:22], v[11:12], v[15:16]
	s_delay_alu instid0(VALU_DEP_1) | instskip(NEXT) | instid1(VALU_DEP_1)
	v_fma_f64 v[11:12], v[15:16], v[11:12], -v[21:22]
	v_fma_f64 v[9:10], v[15:16], v[9:10], v[11:12]
	s_delay_alu instid0(VALU_DEP_1) | instskip(NEXT) | instid1(VALU_DEP_1)
	v_add_f64 v[11:12], v[21:22], v[9:10]
	v_add_f64 v[19:20], v[17:18], -v[11:12]
	v_add_f64 v[21:22], v[11:12], -v[21:22]
	s_delay_alu instid0(VALU_DEP_2) | instskip(NEXT) | instid1(VALU_DEP_2)
	v_add_f64 v[17:18], v[17:18], -v[19:20]
	v_add_f64 v[9:10], v[21:22], -v[9:10]
	s_delay_alu instid0(VALU_DEP_2) | instskip(NEXT) | instid1(VALU_DEP_1)
	v_add_f64 v[11:12], v[17:18], -v[11:12]
	v_add_f64 v[9:10], v[9:10], v[11:12]
	s_delay_alu instid0(VALU_DEP_1) | instskip(NEXT) | instid1(VALU_DEP_1)
	v_add_f64 v[9:10], v[19:20], v[9:10]
	v_mul_f64 v[9:10], v[13:14], v[9:10]
	s_delay_alu instid0(VALU_DEP_1) | instskip(NEXT) | instid1(VALU_DEP_1)
	v_add_f64 v[11:12], v[15:16], v[9:10]
	v_add_f64 v[13:14], v[11:12], -v[15:16]
	v_mul_f64 v[15:16], v[11:12], v[11:12]
	s_delay_alu instid0(VALU_DEP_2) | instskip(NEXT) | instid1(VALU_DEP_2)
	v_add_f64 v[9:10], v[9:10], -v[13:14]
	v_fma_f64 v[13:14], v[11:12], v[11:12], -v[15:16]
	s_delay_alu instid0(VALU_DEP_2) | instskip(NEXT) | instid1(VALU_DEP_1)
	v_add_f64 v[17:18], v[9:10], v[9:10]
	v_fma_f64 v[13:14], v[11:12], v[17:18], v[13:14]
	s_delay_alu instid0(VALU_DEP_1) | instskip(NEXT) | instid1(VALU_DEP_1)
	v_add_f64 v[17:18], v[15:16], v[13:14]
	v_fma_f64 v[19:20], v[17:18], s[18:19], s[16:17]
	v_add_f64 v[15:16], v[17:18], -v[15:16]
	v_mul_f64 v[25:26], v[11:12], v[17:18]
	s_delay_alu instid0(VALU_DEP_3) | instskip(NEXT) | instid1(VALU_DEP_3)
	v_fma_f64 v[19:20], v[17:18], v[19:20], s[30:31]
	v_add_f64 v[13:14], v[13:14], -v[15:16]
	s_delay_alu instid0(VALU_DEP_3) | instskip(NEXT) | instid1(VALU_DEP_3)
	v_fma_f64 v[27:28], v[17:18], v[11:12], -v[25:26]
	v_fma_f64 v[19:20], v[17:18], v[19:20], s[34:35]
	s_delay_alu instid0(VALU_DEP_1) | instskip(NEXT) | instid1(VALU_DEP_1)
	v_fma_f64 v[19:20], v[17:18], v[19:20], s[36:37]
	v_fma_f64 v[19:20], v[17:18], v[19:20], s[38:39]
	s_delay_alu instid0(VALU_DEP_1) | instskip(NEXT) | instid1(VALU_DEP_1)
	v_fma_f64 v[19:20], v[17:18], v[19:20], s[40:41]
	;; [unrolled: 3-line block ×3, first 2 shown]
	v_mul_f64 v[21:22], v[17:18], v[19:20]
	s_delay_alu instid0(VALU_DEP_1) | instskip(SKIP_2) | instid1(VALU_DEP_3)
	v_fma_f64 v[15:16], v[17:18], v[19:20], -v[21:22]
	v_fma_f64 v[17:18], v[17:18], v[9:10], v[27:28]
	v_ldexp_f64 v[9:10], v[9:10], 1
	v_fma_f64 v[15:16], v[13:14], v[19:20], v[15:16]
	s_delay_alu instid0(VALU_DEP_3) | instskip(SKIP_1) | instid1(VALU_DEP_3)
	v_fma_f64 v[13:14], v[13:14], v[11:12], v[17:18]
	v_ldexp_f64 v[11:12], v[11:12], 1
	v_add_f64 v[19:20], v[21:22], v[15:16]
	s_delay_alu instid0(VALU_DEP_1) | instskip(SKIP_1) | instid1(VALU_DEP_2)
	v_add_f64 v[21:22], v[19:20], -v[21:22]
	v_add_f64 v[23:24], v[19:20], s[14:15]
	v_add_f64 v[15:16], v[15:16], -v[21:22]
	s_delay_alu instid0(VALU_DEP_2) | instskip(NEXT) | instid1(VALU_DEP_2)
	v_add_f64 v[21:22], v[23:24], s[48:49]
	v_add_f64 v[15:16], v[15:16], s[50:51]
	s_delay_alu instid0(VALU_DEP_2) | instskip(NEXT) | instid1(VALU_DEP_1)
	v_add_f64 v[19:20], v[19:20], -v[21:22]
	v_add_f64 v[15:16], v[15:16], v[19:20]
	v_add_f64 v[19:20], v[25:26], v[13:14]
	s_delay_alu instid0(VALU_DEP_2) | instskip(NEXT) | instid1(VALU_DEP_2)
	v_add_f64 v[17:18], v[23:24], v[15:16]
	v_add_f64 v[25:26], v[19:20], -v[25:26]
	s_delay_alu instid0(VALU_DEP_2) | instskip(SKIP_1) | instid1(VALU_DEP_3)
	v_add_f64 v[21:22], v[23:24], -v[17:18]
	v_mul_f64 v[23:24], v[19:20], v[17:18]
	v_add_f64 v[13:14], v[13:14], -v[25:26]
	s_delay_alu instid0(VALU_DEP_3) | instskip(NEXT) | instid1(VALU_DEP_3)
	v_add_f64 v[15:16], v[15:16], v[21:22]
	v_fma_f64 v[21:22], v[19:20], v[17:18], -v[23:24]
	s_delay_alu instid0(VALU_DEP_1) | instskip(NEXT) | instid1(VALU_DEP_1)
	v_fma_f64 v[15:16], v[19:20], v[15:16], v[21:22]
	v_fma_f64 v[13:14], v[13:14], v[17:18], v[15:16]
	v_cvt_f64_i32_e32 v[17:18], v0
	s_delay_alu instid0(VALU_DEP_2) | instskip(NEXT) | instid1(VALU_DEP_1)
	v_add_f64 v[15:16], v[23:24], v[13:14]
	v_add_f64 v[19:20], v[15:16], -v[23:24]
	v_add_f64 v[21:22], v[11:12], v[15:16]
	s_delay_alu instid0(VALU_DEP_4) | instskip(NEXT) | instid1(VALU_DEP_3)
	v_mul_f64 v[23:24], v[17:18], s[46:47]
	v_add_f64 v[13:14], v[13:14], -v[19:20]
	s_delay_alu instid0(VALU_DEP_3) | instskip(NEXT) | instid1(VALU_DEP_3)
	v_add_f64 v[11:12], v[21:22], -v[11:12]
	v_fma_f64 v[19:20], v[17:18], s[46:47], -v[23:24]
	s_delay_alu instid0(VALU_DEP_3) | instskip(NEXT) | instid1(VALU_DEP_3)
	v_add_f64 v[9:10], v[9:10], v[13:14]
	v_add_f64 v[11:12], v[15:16], -v[11:12]
	s_delay_alu instid0(VALU_DEP_3) | instskip(NEXT) | instid1(VALU_DEP_2)
	v_fma_f64 v[13:14], v[17:18], s[52:53], v[19:20]
	v_add_f64 v[9:10], v[9:10], v[11:12]
	s_delay_alu instid0(VALU_DEP_2) | instskip(NEXT) | instid1(VALU_DEP_2)
	v_add_f64 v[11:12], v[23:24], v[13:14]
	v_add_f64 v[15:16], v[21:22], v[9:10]
	s_delay_alu instid0(VALU_DEP_2) | instskip(NEXT) | instid1(VALU_DEP_2)
	v_add_f64 v[23:24], v[11:12], -v[23:24]
	v_add_f64 v[17:18], v[11:12], v[15:16]
	v_add_f64 v[21:22], v[15:16], -v[21:22]
	s_delay_alu instid0(VALU_DEP_3) | instskip(NEXT) | instid1(VALU_DEP_3)
	v_add_f64 v[13:14], v[13:14], -v[23:24]
	v_add_f64 v[19:20], v[17:18], -v[11:12]
	s_delay_alu instid0(VALU_DEP_3) | instskip(NEXT) | instid1(VALU_DEP_2)
	v_add_f64 v[9:10], v[9:10], -v[21:22]
	v_add_f64 v[25:26], v[17:18], -v[19:20]
	;; [unrolled: 1-line block ×3, first 2 shown]
	s_delay_alu instid0(VALU_DEP_3) | instskip(NEXT) | instid1(VALU_DEP_3)
	v_add_f64 v[19:20], v[13:14], v[9:10]
	v_add_f64 v[11:12], v[11:12], -v[25:26]
	s_delay_alu instid0(VALU_DEP_1) | instskip(NEXT) | instid1(VALU_DEP_3)
	v_add_f64 v[11:12], v[15:16], v[11:12]
	v_add_f64 v[15:16], v[19:20], -v[13:14]
	s_delay_alu instid0(VALU_DEP_2) | instskip(NEXT) | instid1(VALU_DEP_2)
	v_add_f64 v[11:12], v[19:20], v[11:12]
	v_add_f64 v[19:20], v[19:20], -v[15:16]
	v_add_f64 v[9:10], v[9:10], -v[15:16]
	s_delay_alu instid0(VALU_DEP_3) | instskip(NEXT) | instid1(VALU_DEP_3)
	v_add_f64 v[21:22], v[17:18], v[11:12]
	v_add_f64 v[13:14], v[13:14], -v[19:20]
	s_delay_alu instid0(VALU_DEP_2) | instskip(NEXT) | instid1(VALU_DEP_2)
	v_add_f64 v[15:16], v[21:22], -v[17:18]
	v_add_f64 v[9:10], v[9:10], v[13:14]
	s_delay_alu instid0(VALU_DEP_2) | instskip(NEXT) | instid1(VALU_DEP_1)
	v_add_f64 v[11:12], v[11:12], -v[15:16]
	v_add_f64 v[9:10], v[9:10], v[11:12]
	s_delay_alu instid0(VALU_DEP_1) | instskip(NEXT) | instid1(VALU_DEP_1)
	v_add_f64 v[11:12], v[21:22], v[9:10]
	v_add_f64 v[13:14], v[11:12], -v[21:22]
	v_mul_f64 v[15:16], v[7:8], v[11:12]
	s_delay_alu instid0(VALU_DEP_2) | instskip(NEXT) | instid1(VALU_DEP_2)
	v_add_f64 v[9:10], v[9:10], -v[13:14]
	v_fma_f64 v[11:12], v[7:8], v[11:12], -v[15:16]
	v_cmp_class_f64_e64 s3, v[15:16], 0x204
	s_delay_alu instid0(VALU_DEP_2) | instskip(NEXT) | instid1(VALU_DEP_1)
	v_fma_f64 v[7:8], v[7:8], v[9:10], v[11:12]
	v_add_f64 v[9:10], v[15:16], v[7:8]
	s_delay_alu instid0(VALU_DEP_1) | instskip(NEXT) | instid1(VALU_DEP_2)
	v_cndmask_b32_e64 v12, v10, v16, s3
	v_cndmask_b32_e64 v11, v9, v15, s3
	v_cmp_neq_f32_e64 s3, s21, 1.0
	v_add_f64 v[9:10], v[9:10], -v[15:16]
	s_delay_alu instid0(VALU_DEP_3) | instskip(NEXT) | instid1(VALU_DEP_3)
	v_mul_f64 v[13:14], v[11:12], s[54:55]
	v_cndmask_b32_e64 v6, 0x3ff00000, v6, s3
	v_cndmask_b32_e64 v5, 0, v5, s3
	v_cmp_lt_f64_e64 s4, 0x40900000, v[11:12]
	v_cmp_ngt_f64_e64 s5, 0xc090cc00, v[11:12]
	s_delay_alu instid0(VALU_DEP_3) | instskip(SKIP_2) | instid1(VALU_DEP_1)
	v_cmp_neq_f64_e64 s3, 0, v[5:6]
	v_add_f64 v[7:8], v[7:8], -v[9:10]
	v_rndne_f64_e32 v[13:14], v[13:14]
	v_fma_f64 v[17:18], v[13:14], s[56:57], v[11:12]
	v_cvt_i32_f64_e32 v0, v[13:14]
	s_delay_alu instid0(VALU_DEP_2) | instskip(NEXT) | instid1(VALU_DEP_1)
	v_fma_f64 v[17:18], v[13:14], s[58:59], v[17:18]
	v_fma_f64 v[19:20], v[17:18], s[62:63], s[60:61]
	s_delay_alu instid0(VALU_DEP_1) | instskip(NEXT) | instid1(VALU_DEP_1)
	v_fma_f64 v[19:20], v[17:18], v[19:20], s[64:65]
	v_fma_f64 v[19:20], v[17:18], v[19:20], s[66:67]
	s_delay_alu instid0(VALU_DEP_1) | instskip(NEXT) | instid1(VALU_DEP_1)
	;; [unrolled: 3-line block ×5, first 2 shown]
	v_fma_f64 v[19:20], v[17:18], v[19:20], 1.0
	v_fma_f64 v[13:14], v[17:18], v[19:20], 1.0
	v_cvt_f64_f32_e32 v[17:18], s21
	v_mul_f64 v[19:20], v[5:6], 0.5
	s_delay_alu instid0(VALU_DEP_3) | instskip(NEXT) | instid1(VALU_DEP_3)
	v_ldexp_f64 v[13:14], v[13:14], v0
	v_cndmask_b32_e64 v16, 0x3ff00000, v18, s3
	s_delay_alu instid0(VALU_DEP_4) | instskip(SKIP_3) | instid1(VALU_DEP_4)
	v_cndmask_b32_e64 v15, 0, v17, s3
	v_trunc_f64_e32 v[17:18], v[5:6]
	v_trunc_f64_e32 v[21:22], v[19:20]
	v_cmp_neq_f64_e64 s3, 0x7ff00000, |v[11:12]|
	v_frexp_mant_f64_e64 v[23:24], |v[15:16]|
	v_frexp_exp_i32_f64_e32 v11, v[15:16]
	v_cmp_class_f64_e64 s26, v[15:16], 0x204
	v_cmp_eq_f64_e64 s6, 0, v[15:16]
	v_dual_mov_b32 v9, v13 :: v_dual_and_b32 v10, 0x7fffffff, v14
	v_cndmask_b32_e64 v0, v13, 0, s4
	v_cmp_eq_f64_e64 s8, v[17:18], v[5:6]
	v_cmp_neq_f64_e64 s9, v[21:22], v[19:20]
	v_cndmask_b32_e64 v3, v14, 0x7ff00000, s4
	v_cmp_eq_f64_e64 s7, 0x7ff00000, v[9:10]
	v_cmp_gt_f64_e64 s10, s[14:15], v[23:24]
	v_cndmask_b32_e64 v8, 0, v8, s3
	v_cndmask_b32_e64 v7, 0, v7, s3
	;; [unrolled: 1-line block ×4, first 2 shown]
	s_delay_alu instid0(VALU_DEP_1)
	v_fma_f64 v[7:8], v[9:10], v[7:8], v[9:10]
	s_or_b32 s4, s4, s7
	v_subrev_co_ci_u32_e64 v0, s3, 0, v11, s10
	s_or_b32 s3, s26, s6
	s_and_b32 s4, s5, s4
	s_and_b32 s5, s6, exec_lo
	s_cselect_b32 s26, 0, 0x7ff00000
	s_and_b32 s5, s8, s9
	s_and_b32 s6, s10, exec_lo
	s_cselect_b32 s83, 2.0, 0x3ff00000
	s_delay_alu instid0(VALU_DEP_2) | instskip(SKIP_1) | instid1(VALU_DEP_4)
	v_cndmask_b32_e64 v7, v7, v9, s4
	v_mul_f64 v[11:12], v[23:24], s[82:83]
	v_cndmask_b32_e64 v8, v8, v10, s4
	s_delay_alu instid0(VALU_DEP_2) | instskip(SKIP_1) | instid1(VALU_DEP_2)
	v_add_f64 v[13:14], v[11:12], 1.0
	v_add_f64 v[21:22], v[11:12], -1.0
	v_rcp_f64_e32 v[17:18], v[13:14]
	v_add_f64 v[23:24], v[13:14], -1.0
	s_delay_alu instid0(VALU_DEP_1) | instskip(SKIP_2) | instid1(VALU_DEP_1)
	v_add_f64 v[11:12], v[11:12], -v[23:24]
	s_waitcnt_depctr 0xfff
	v_fma_f64 v[19:20], -v[13:14], v[17:18], 1.0
	v_fma_f64 v[17:18], v[19:20], v[17:18], v[17:18]
	s_delay_alu instid0(VALU_DEP_1) | instskip(NEXT) | instid1(VALU_DEP_1)
	v_fma_f64 v[19:20], -v[13:14], v[17:18], 1.0
	v_fma_f64 v[17:18], v[19:20], v[17:18], v[17:18]
	s_delay_alu instid0(VALU_DEP_1) | instskip(NEXT) | instid1(VALU_DEP_1)
	v_mul_f64 v[19:20], v[21:22], v[17:18]
	v_mul_f64 v[25:26], v[13:14], v[19:20]
	s_delay_alu instid0(VALU_DEP_1) | instskip(NEXT) | instid1(VALU_DEP_1)
	v_fma_f64 v[13:14], v[19:20], v[13:14], -v[25:26]
	v_fma_f64 v[11:12], v[19:20], v[11:12], v[13:14]
	s_delay_alu instid0(VALU_DEP_1) | instskip(NEXT) | instid1(VALU_DEP_1)
	v_add_f64 v[13:14], v[25:26], v[11:12]
	v_add_f64 v[23:24], v[21:22], -v[13:14]
	v_add_f64 v[25:26], v[13:14], -v[25:26]
	s_delay_alu instid0(VALU_DEP_2) | instskip(NEXT) | instid1(VALU_DEP_2)
	v_add_f64 v[21:22], v[21:22], -v[23:24]
	v_add_f64 v[11:12], v[25:26], -v[11:12]
	s_delay_alu instid0(VALU_DEP_2) | instskip(NEXT) | instid1(VALU_DEP_1)
	v_add_f64 v[13:14], v[21:22], -v[13:14]
	v_add_f64 v[11:12], v[11:12], v[13:14]
	s_delay_alu instid0(VALU_DEP_1) | instskip(NEXT) | instid1(VALU_DEP_1)
	v_add_f64 v[11:12], v[23:24], v[11:12]
	v_mul_f64 v[11:12], v[17:18], v[11:12]
	s_delay_alu instid0(VALU_DEP_1) | instskip(NEXT) | instid1(VALU_DEP_1)
	v_add_f64 v[13:14], v[19:20], v[11:12]
	v_add_f64 v[17:18], v[13:14], -v[19:20]
	v_mul_f64 v[19:20], v[13:14], v[13:14]
	s_delay_alu instid0(VALU_DEP_2) | instskip(NEXT) | instid1(VALU_DEP_2)
	v_add_f64 v[11:12], v[11:12], -v[17:18]
	v_fma_f64 v[17:18], v[13:14], v[13:14], -v[19:20]
	s_delay_alu instid0(VALU_DEP_2) | instskip(NEXT) | instid1(VALU_DEP_1)
	v_add_f64 v[21:22], v[11:12], v[11:12]
	v_fma_f64 v[17:18], v[13:14], v[21:22], v[17:18]
	s_delay_alu instid0(VALU_DEP_1) | instskip(NEXT) | instid1(VALU_DEP_1)
	v_add_f64 v[21:22], v[19:20], v[17:18]
	v_fma_f64 v[23:24], v[21:22], s[18:19], s[16:17]
	v_add_f64 v[19:20], v[21:22], -v[19:20]
	v_mul_f64 v[29:30], v[13:14], v[21:22]
	s_delay_alu instid0(VALU_DEP_3) | instskip(NEXT) | instid1(VALU_DEP_3)
	v_fma_f64 v[23:24], v[21:22], v[23:24], s[30:31]
	v_add_f64 v[17:18], v[17:18], -v[19:20]
	s_delay_alu instid0(VALU_DEP_3) | instskip(NEXT) | instid1(VALU_DEP_3)
	v_fma_f64 v[31:32], v[21:22], v[13:14], -v[29:30]
	v_fma_f64 v[23:24], v[21:22], v[23:24], s[34:35]
	s_delay_alu instid0(VALU_DEP_1) | instskip(NEXT) | instid1(VALU_DEP_1)
	v_fma_f64 v[23:24], v[21:22], v[23:24], s[36:37]
	v_fma_f64 v[23:24], v[21:22], v[23:24], s[38:39]
	s_delay_alu instid0(VALU_DEP_1) | instskip(NEXT) | instid1(VALU_DEP_1)
	v_fma_f64 v[23:24], v[21:22], v[23:24], s[40:41]
	;; [unrolled: 3-line block ×3, first 2 shown]
	v_mul_f64 v[25:26], v[21:22], v[23:24]
	s_delay_alu instid0(VALU_DEP_1) | instskip(SKIP_2) | instid1(VALU_DEP_3)
	v_fma_f64 v[19:20], v[21:22], v[23:24], -v[25:26]
	v_fma_f64 v[21:22], v[21:22], v[11:12], v[31:32]
	v_ldexp_f64 v[11:12], v[11:12], 1
	v_fma_f64 v[19:20], v[17:18], v[23:24], v[19:20]
	s_delay_alu instid0(VALU_DEP_3) | instskip(SKIP_1) | instid1(VALU_DEP_3)
	v_fma_f64 v[17:18], v[17:18], v[13:14], v[21:22]
	v_ldexp_f64 v[13:14], v[13:14], 1
	v_add_f64 v[23:24], v[25:26], v[19:20]
	s_delay_alu instid0(VALU_DEP_1) | instskip(SKIP_1) | instid1(VALU_DEP_2)
	v_add_f64 v[25:26], v[23:24], -v[25:26]
	v_add_f64 v[27:28], v[23:24], s[14:15]
	v_add_f64 v[19:20], v[19:20], -v[25:26]
	s_delay_alu instid0(VALU_DEP_2) | instskip(NEXT) | instid1(VALU_DEP_2)
	v_add_f64 v[25:26], v[27:28], s[48:49]
	v_add_f64 v[19:20], v[19:20], s[50:51]
	s_delay_alu instid0(VALU_DEP_2) | instskip(NEXT) | instid1(VALU_DEP_1)
	v_add_f64 v[23:24], v[23:24], -v[25:26]
	v_add_f64 v[19:20], v[19:20], v[23:24]
	v_add_f64 v[23:24], v[29:30], v[17:18]
	s_delay_alu instid0(VALU_DEP_2) | instskip(NEXT) | instid1(VALU_DEP_2)
	v_add_f64 v[21:22], v[27:28], v[19:20]
	v_add_f64 v[29:30], v[23:24], -v[29:30]
	s_delay_alu instid0(VALU_DEP_2) | instskip(SKIP_1) | instid1(VALU_DEP_3)
	v_add_f64 v[25:26], v[27:28], -v[21:22]
	v_mul_f64 v[27:28], v[23:24], v[21:22]
	v_add_f64 v[17:18], v[17:18], -v[29:30]
	s_delay_alu instid0(VALU_DEP_3) | instskip(NEXT) | instid1(VALU_DEP_3)
	v_add_f64 v[19:20], v[19:20], v[25:26]
	v_fma_f64 v[25:26], v[23:24], v[21:22], -v[27:28]
	s_delay_alu instid0(VALU_DEP_1) | instskip(NEXT) | instid1(VALU_DEP_1)
	v_fma_f64 v[19:20], v[23:24], v[19:20], v[25:26]
	v_fma_f64 v[17:18], v[17:18], v[21:22], v[19:20]
	v_cvt_f64_i32_e32 v[21:22], v0
	s_delay_alu instid0(VALU_DEP_2) | instskip(NEXT) | instid1(VALU_DEP_1)
	v_add_f64 v[19:20], v[27:28], v[17:18]
	v_add_f64 v[23:24], v[19:20], -v[27:28]
	v_add_f64 v[25:26], v[13:14], v[19:20]
	s_delay_alu instid0(VALU_DEP_4) | instskip(NEXT) | instid1(VALU_DEP_3)
	v_mul_f64 v[27:28], v[21:22], s[46:47]
	v_add_f64 v[17:18], v[17:18], -v[23:24]
	s_delay_alu instid0(VALU_DEP_3) | instskip(NEXT) | instid1(VALU_DEP_3)
	v_add_f64 v[13:14], v[25:26], -v[13:14]
	v_fma_f64 v[23:24], v[21:22], s[46:47], -v[27:28]
	s_delay_alu instid0(VALU_DEP_3) | instskip(NEXT) | instid1(VALU_DEP_3)
	v_add_f64 v[11:12], v[11:12], v[17:18]
	v_add_f64 v[13:14], v[19:20], -v[13:14]
	s_delay_alu instid0(VALU_DEP_3) | instskip(NEXT) | instid1(VALU_DEP_2)
	v_fma_f64 v[17:18], v[21:22], s[52:53], v[23:24]
	v_add_f64 v[11:12], v[11:12], v[13:14]
	s_delay_alu instid0(VALU_DEP_2) | instskip(NEXT) | instid1(VALU_DEP_2)
	v_add_f64 v[13:14], v[27:28], v[17:18]
	v_add_f64 v[19:20], v[25:26], v[11:12]
	s_delay_alu instid0(VALU_DEP_2) | instskip(NEXT) | instid1(VALU_DEP_2)
	v_add_f64 v[27:28], v[13:14], -v[27:28]
	v_add_f64 v[21:22], v[13:14], v[19:20]
	v_add_f64 v[25:26], v[19:20], -v[25:26]
	s_delay_alu instid0(VALU_DEP_3) | instskip(NEXT) | instid1(VALU_DEP_3)
	v_add_f64 v[17:18], v[17:18], -v[27:28]
	v_add_f64 v[23:24], v[21:22], -v[13:14]
	s_delay_alu instid0(VALU_DEP_3) | instskip(NEXT) | instid1(VALU_DEP_2)
	v_add_f64 v[11:12], v[11:12], -v[25:26]
	v_add_f64 v[29:30], v[21:22], -v[23:24]
	;; [unrolled: 1-line block ×3, first 2 shown]
	s_delay_alu instid0(VALU_DEP_3) | instskip(NEXT) | instid1(VALU_DEP_3)
	v_add_f64 v[23:24], v[17:18], v[11:12]
	v_add_f64 v[13:14], v[13:14], -v[29:30]
	s_delay_alu instid0(VALU_DEP_1) | instskip(NEXT) | instid1(VALU_DEP_3)
	v_add_f64 v[13:14], v[19:20], v[13:14]
	v_add_f64 v[19:20], v[23:24], -v[17:18]
	s_delay_alu instid0(VALU_DEP_2) | instskip(NEXT) | instid1(VALU_DEP_2)
	v_add_f64 v[13:14], v[23:24], v[13:14]
	v_add_f64 v[23:24], v[23:24], -v[19:20]
	v_add_f64 v[11:12], v[11:12], -v[19:20]
	s_delay_alu instid0(VALU_DEP_3) | instskip(NEXT) | instid1(VALU_DEP_3)
	v_add_f64 v[25:26], v[21:22], v[13:14]
	v_add_f64 v[17:18], v[17:18], -v[23:24]
	s_delay_alu instid0(VALU_DEP_2) | instskip(NEXT) | instid1(VALU_DEP_2)
	v_add_f64 v[19:20], v[25:26], -v[21:22]
	v_add_f64 v[11:12], v[11:12], v[17:18]
	s_delay_alu instid0(VALU_DEP_2) | instskip(NEXT) | instid1(VALU_DEP_1)
	v_add_f64 v[13:14], v[13:14], -v[19:20]
	v_add_f64 v[11:12], v[11:12], v[13:14]
	s_delay_alu instid0(VALU_DEP_1) | instskip(NEXT) | instid1(VALU_DEP_1)
	v_add_f64 v[13:14], v[25:26], v[11:12]
	v_add_f64 v[17:18], v[13:14], -v[25:26]
	v_mul_f64 v[19:20], v[5:6], v[13:14]
	s_delay_alu instid0(VALU_DEP_2) | instskip(NEXT) | instid1(VALU_DEP_2)
	v_add_f64 v[11:12], v[11:12], -v[17:18]
	v_fma_f64 v[13:14], v[5:6], v[13:14], -v[19:20]
	v_cmp_class_f64_e64 s6, v[19:20], 0x204
	s_delay_alu instid0(VALU_DEP_2) | instskip(NEXT) | instid1(VALU_DEP_1)
	v_fma_f64 v[5:6], v[5:6], v[11:12], v[13:14]
	v_add_f64 v[11:12], v[19:20], v[5:6]
	s_delay_alu instid0(VALU_DEP_1) | instskip(NEXT) | instid1(VALU_DEP_2)
	v_cndmask_b32_e64 v14, v12, v20, s6
	v_cndmask_b32_e64 v13, v11, v19, s6
	v_add_f64 v[11:12], v[11:12], -v[19:20]
	s_delay_alu instid0(VALU_DEP_2)
	v_mul_f64 v[17:18], v[13:14], s[54:55]
	v_cmp_lt_f64_e64 s6, 0x40900000, v[13:14]
	v_cmp_neq_f64_e64 s7, 0x7ff00000, |v[13:14]|
	v_cmp_ngt_f64_e64 s8, 0xc090cc00, v[13:14]
	v_add_f64 v[5:6], v[5:6], -v[11:12]
	v_rndne_f64_e32 v[17:18], v[17:18]
	s_delay_alu instid0(VALU_DEP_2) | instskip(NEXT) | instid1(VALU_DEP_3)
	v_cndmask_b32_e64 v6, 0, v6, s7
	v_cndmask_b32_e64 v5, 0, v5, s7
	s_delay_alu instid0(VALU_DEP_3) | instskip(SKIP_2) | instid1(VALU_DEP_3)
	v_fma_f64 v[21:22], v[17:18], s[56:57], v[13:14]
	v_cvt_i32_f64_e32 v0, v[17:18]
	v_cndmask_b32_e64 v13, 0x3ff00000, v16, s5
	v_fma_f64 v[21:22], v[17:18], s[58:59], v[21:22]
	s_delay_alu instid0(VALU_DEP_1) | instskip(NEXT) | instid1(VALU_DEP_1)
	v_fma_f64 v[23:24], v[21:22], s[62:63], s[60:61]
	v_fma_f64 v[23:24], v[21:22], v[23:24], s[64:65]
	s_delay_alu instid0(VALU_DEP_1) | instskip(NEXT) | instid1(VALU_DEP_1)
	v_fma_f64 v[23:24], v[21:22], v[23:24], s[66:67]
	;; [unrolled: 3-line block ×5, first 2 shown]
	v_fma_f64 v[23:24], v[21:22], v[23:24], 1.0
	s_delay_alu instid0(VALU_DEP_1) | instskip(NEXT) | instid1(VALU_DEP_1)
	v_fma_f64 v[17:18], v[21:22], v[23:24], 1.0
	v_ldexp_f64 v[17:18], v[17:18], v0
	s_delay_alu instid0(VALU_DEP_1) | instskip(NEXT) | instid1(VALU_DEP_2)
	v_cndmask_b32_e64 v0, v17, 0, s6
	v_cndmask_b32_e64 v3, v18, 0x7ff00000, s6
	v_and_b32_e32 v18, 0x7fffffff, v18
	s_delay_alu instid0(VALU_DEP_3) | instskip(NEXT) | instid1(VALU_DEP_3)
	v_cndmask_b32_e64 v11, 0, v0, s8
	v_cndmask_b32_e64 v12, 0, v3, s8
	s_delay_alu instid0(VALU_DEP_3) | instskip(SKIP_4) | instid1(VALU_DEP_4)
	v_cmp_eq_f64_e64 s7, 0x7ff00000, v[17:18]
	v_cndmask_b32_e64 v0, 0, v4, s2
	v_cndmask_b32_e64 v3, 0x3ff00000, v4, s2
	;; [unrolled: 1-line block ×3, first 2 shown]
	v_fma_f64 v[5:6], v[11:12], v[5:6], v[11:12]
	v_bfi_b32 v0, 0x7fffffff, s11, v0
	s_delay_alu instid0(VALU_DEP_4) | instskip(NEXT) | instid1(VALU_DEP_4)
	v_bfi_b32 v8, 0x7fffffff, v8, v3
	v_bfi_b32 v9, 0x7fffffff, s26, v4
	v_cndmask_b32_e64 v3, v7, 0, vcc_lo
	s_load_b32 s26, s[12:13], 0x0
	s_delay_alu instid0(VALU_DEP_3) | instskip(NEXT) | instid1(VALU_DEP_1)
	v_cndmask_b32_e32 v4, v8, v0, vcc_lo
	v_add_f64 v[3:4], -v[3:4], 1.0
	s_waitcnt lgkmcnt(0)
	s_mul_i32 s26, s26, s81
	s_or_b32 s2, s6, s7
	s_delay_alu instid0(SALU_CYCLE_1)
	s_and_b32 s2, s8, s2
	s_clause 0x1
	s_load_b512 s[4:19], s[0:1], 0x0
	s_load_b64 s[30:31], s[0:1], 0x40
	v_cndmask_b32_e64 v6, v6, v12, s2
	v_cndmask_b32_e64 v5, v5, v11, s2
	v_cmp_neq_f32_e64 s1, s23, 0
	s_delay_alu instid0(VALU_DEP_3) | instskip(NEXT) | instid1(VALU_DEP_3)
	v_bfi_b32 v6, 0x7fffffff, v6, v13
	v_cndmask_b32_e64 v5, v5, 0, s3
	s_delay_alu instid0(VALU_DEP_2) | instskip(SKIP_1) | instid1(VALU_DEP_2)
	v_cndmask_b32_e64 v6, v6, v9, s3
	v_cvt_f32_f64_e32 v0, v[3:4]
	v_add_f64 v[5:6], -v[5:6], 1.0
	s_delay_alu instid0(VALU_DEP_2) | instskip(NEXT) | instid1(VALU_DEP_2)
	v_cmp_gt_f32_e32 vcc_lo, 0xf800000, v0
	v_cvt_f32_f64_e32 v8, v[5:6]
	s_delay_alu instid0(VALU_DEP_1) | instskip(NEXT) | instid1(VALU_DEP_1)
	v_div_scale_f32 v4, null, v8, v8, s20
	v_rcp_f32_e32 v6, v4
	s_waitcnt_depctr 0xfff
	v_fma_f32 v5, -v4, v6, 1.0
	s_delay_alu instid0(VALU_DEP_1) | instskip(SKIP_1) | instid1(VALU_DEP_1)
	v_dual_mul_f32 v3, 0x4f800000, v0 :: v_dual_fmac_f32 v6, v5, v6
	v_div_scale_f32 v5, s2, s20, v8, s20
	v_dual_cndmask_b32 v3, v0, v3 :: v_dual_mul_f32 v12, v5, v6
	s_delay_alu instid0(VALU_DEP_1) | instskip(SKIP_3) | instid1(VALU_DEP_2)
	v_sqrt_f32_e32 v0, v3
	s_waitcnt_depctr 0xfff
	v_add_nc_u32_e32 v7, -1, v0
	v_add_nc_u32_e32 v9, 1, v0
	v_fma_f32 v10, -v7, v0, v3
	s_delay_alu instid0(VALU_DEP_2) | instskip(NEXT) | instid1(VALU_DEP_2)
	v_fma_f32 v11, -v9, v0, v3
	v_cmp_ge_f32_e64 s3, 0, v10
	s_delay_alu instid0(VALU_DEP_1) | instskip(SKIP_1) | instid1(VALU_DEP_4)
	v_cndmask_b32_e64 v0, v0, v7, s3
	v_fma_f32 v7, -v4, v12, v5
	v_cmp_lt_f32_e64 s3, 0, v11
	s_delay_alu instid0(VALU_DEP_2) | instskip(NEXT) | instid1(VALU_DEP_2)
	v_fmac_f32_e32 v12, v7, v6
	v_cndmask_b32_e64 v9, v0, v9, s3
	v_mul_f32_e64 v0, s20, s23
	s_delay_alu instid0(VALU_DEP_3) | instskip(NEXT) | instid1(VALU_DEP_3)
	v_fma_f32 v4, -v4, v12, v5
	v_mul_f32_e32 v7, 0x37800000, v9
	v_sub_f32_e64 v5, 1.0, s22
	s_delay_alu instid0(VALU_DEP_2) | instskip(SKIP_4) | instid1(VALU_DEP_2)
	v_cndmask_b32_e32 v7, v9, v7, vcc_lo
	s_mov_b32 vcc_lo, s2
	s_lshl_b64 s[2:3], s[26:27], 2
	v_div_fmas_f32 v9, v4, v6, v12
	v_cmp_class_f32_e64 vcc_lo, v3, 0x260
	v_div_fixup_f32 v8, v9, v8, s20
	v_cndmask_b32_e32 v6, v7, v3, vcc_lo
	v_lshlrev_b64 v[3:4], 2, v[1:2]
	v_sub_f32_e64 v7, 1.0, s21
	s_branch .LBB0_3
.LBB0_2:                                ;   in Loop: Header=BB0_3 Depth=1
	s_delay_alu instid0(VALU_DEP_1) | instskip(SKIP_1) | instid1(VALU_DEP_2)
	v_mul_f32_e32 v14, 0x4f800000, v13
	v_cmp_gt_f32_e32 vcc_lo, 0xf800000, v13
	v_cndmask_b32_e32 v13, v13, v14, vcc_lo
	s_delay_alu instid0(VALU_DEP_1) | instskip(SKIP_3) | instid1(VALU_DEP_2)
	v_sqrt_f32_e32 v14, v13
	s_waitcnt_depctr 0xfff
	v_add_nc_u32_e32 v15, -1, v14
	v_add_nc_u32_e32 v16, 1, v14
	v_fma_f32 v17, -v15, v14, v13
	s_delay_alu instid0(VALU_DEP_2) | instskip(NEXT) | instid1(VALU_DEP_2)
	v_fma_f32 v18, -v16, v14, v13
	v_cmp_ge_f32_e64 s0, 0, v17
	s_delay_alu instid0(VALU_DEP_1) | instskip(NEXT) | instid1(VALU_DEP_3)
	v_cndmask_b32_e64 v14, v14, v15, s0
	v_cmp_lt_f32_e64 s0, 0, v18
	s_delay_alu instid0(VALU_DEP_1) | instskip(NEXT) | instid1(VALU_DEP_1)
	v_cndmask_b32_e64 v14, v14, v16, s0
	v_mul_f32_e32 v15, 0x37800000, v14
	s_delay_alu instid0(VALU_DEP_1) | instskip(SKIP_1) | instid1(VALU_DEP_2)
	v_cndmask_b32_e32 v14, v14, v15, vcc_lo
	v_cmp_class_f32_e64 vcc_lo, v13, 0x260
	v_cndmask_b32_e32 v13, v14, v13, vcc_lo
	s_delay_alu instid0(VALU_DEP_1) | instskip(SKIP_1) | instid1(VALU_DEP_2)
	v_div_scale_f32 v14, null, v6, v6, v13
	v_div_scale_f32 v17, vcc_lo, v13, v6, v13
	v_rcp_f32_e32 v15, v14
	s_waitcnt_depctr 0xfff
	v_fma_f32 v16, -v14, v15, 1.0
	s_delay_alu instid0(VALU_DEP_1) | instskip(NEXT) | instid1(VALU_DEP_1)
	v_fmac_f32_e32 v15, v16, v15
	v_mul_f32_e32 v16, v17, v15
	s_delay_alu instid0(VALU_DEP_1) | instskip(NEXT) | instid1(VALU_DEP_1)
	v_fma_f32 v18, -v14, v16, v17
	v_fmac_f32_e32 v16, v18, v15
	s_delay_alu instid0(VALU_DEP_1) | instskip(SKIP_1) | instid1(VALU_DEP_2)
	v_fma_f32 v14, -v14, v16, v17
	v_mul_f32_e32 v17, v7, v12
	v_div_fmas_f32 v12, v14, v15, v16
	s_delay_alu instid0(VALU_DEP_2) | instskip(NEXT) | instid1(VALU_DEP_2)
	v_fmac_f32_e32 v17, s21, v11
	v_div_fixup_f32 v11, v12, v6, v13
	s_delay_alu instid0(VALU_DEP_1) | instskip(SKIP_2) | instid1(VALU_DEP_3)
	v_dual_mul_f32 v18, v8, v17 :: v_dual_add_f32 v19, s24, v11
	v_add_co_u32 v11, vcc_lo, s6, v3
	v_add_co_ci_u32_e32 v12, vcc_lo, s7, v4, vcc_lo
	v_div_scale_f32 v20, null, v19, v19, v18
	v_div_scale_f32 v22, vcc_lo, v18, v19, v18
	s_delay_alu instid0(VALU_DEP_2) | instskip(SKIP_2) | instid1(VALU_DEP_1)
	v_rcp_f32_e32 v21, v20
	s_waitcnt_depctr 0xfff
	v_fma_f32 v13, -v20, v21, 1.0
	v_fmac_f32_e32 v21, v13, v21
	v_add_co_u32 v13, s0, s12, v3
	s_delay_alu instid0(VALU_DEP_1) | instskip(NEXT) | instid1(VALU_DEP_3)
	v_add_co_ci_u32_e64 v14, s0, s13, v4, s0
	v_mul_f32_e32 v23, v22, v21
	v_add_co_u32 v15, s0, s16, v3
	s_add_u32 s16, s16, s2
	v_add_co_ci_u32_e64 v16, s0, s17, v4, s0
	s_delay_alu instid0(VALU_DEP_3)
	v_fma_f32 v24, -v20, v23, v22
	s_addc_u32 s17, s17, s3
	s_add_u32 s12, s12, s2
	s_addc_u32 s13, s13, s3
	s_add_u32 s6, s6, s2
	v_fmac_f32_e32 v23, v24, v21
	v_add_co_u32 v1, s0, v1, s26
	s_addc_u32 s7, s7, s3
	s_add_u32 s30, s30, s2
	s_delay_alu instid0(VALU_DEP_2) | instskip(SKIP_3) | instid1(VALU_DEP_2)
	v_fma_f32 v20, -v20, v23, v22
	v_add_co_ci_u32_e64 v2, s0, 0, v2, s0
	s_addc_u32 s31, s31, s3
	s_add_u32 s18, s18, s2
	v_div_fmas_f32 v20, v20, v21, v23
	s_addc_u32 s19, s19, s3
	s_add_u32 s14, s14, s2
	s_addc_u32 s15, s15, s3
	v_cmp_le_u64_e64 s0, s[28:29], v[1:2]
	v_div_fixup_f32 v18, v20, v19, v18
	s_add_u32 s10, s10, s2
	s_addc_u32 s11, s11, s3
	s_add_u32 s4, s4, s2
	s_addc_u32 s5, s5, s3
	v_sub_f32_e32 v9, v9, v18
	s_add_u32 s8, s8, s2
	s_addc_u32 s9, s9, s3
	s_or_b32 s27, s0, s27
	global_store_b32 v[11:12], v9, off
	global_store_b32 v[13:14], v17, off
	;; [unrolled: 1-line block ×3, first 2 shown]
	s_and_not1_b32 exec_lo, exec_lo, s27
	s_cbranch_execz .LBB0_11
.LBB0_3:                                ; =>This Inner Loop Header: Depth=1
	s_waitcnt lgkmcnt(0)
	s_delay_alu instid0(VALU_DEP_2) | instskip(NEXT) | instid1(VALU_DEP_3)
	v_add_co_u32 v9, vcc_lo, s8, v3
	v_add_co_ci_u32_e32 v10, vcc_lo, s9, v4, vcc_lo
	global_load_b32 v15, v[9:10], off
	v_add_co_u32 v9, vcc_lo, s4, v3
	v_add_co_ci_u32_e32 v10, vcc_lo, s5, v4, vcc_lo
	v_add_co_u32 v11, vcc_lo, s10, v3
	v_add_co_ci_u32_e32 v12, vcc_lo, s11, v4, vcc_lo
	;; [unrolled: 2-line block ×3, first 2 shown]
	global_load_b32 v9, v[9:10], off
	global_load_b32 v11, v[11:12], off
	global_load_b32 v13, v[13:14], off
	s_and_not1_b32 vcc_lo, exec_lo, s1
	s_waitcnt vmcnt(3)
	v_cndmask_b32_e64 v12, v15, -v15, s33
	s_cbranch_vccnz .LBB0_9
; %bb.4:                                ;   in Loop: Header=BB0_3 Depth=1
	s_and_b32 vcc_lo, exec_lo, s80
	s_cbranch_vccz .LBB0_6
; %bb.5:                                ;   in Loop: Header=BB0_3 Depth=1
	s_waitcnt vmcnt(2)
	v_fma_f32 v10, s23, v9, v12
	s_cbranch_execz .LBB0_7
	s_branch .LBB0_8
.LBB0_6:                                ;   in Loop: Header=BB0_3 Depth=1
                                        ; implicit-def: $vgpr10
.LBB0_7:                                ;   in Loop: Header=BB0_3 Depth=1
	s_waitcnt vmcnt(2)
	v_fma_f32 v9, -v0, v9, v9
	v_mov_b32_e32 v10, v12
.LBB0_8:                                ;   in Loop: Header=BB0_3 Depth=1
	s_delay_alu instid0(VALU_DEP_1)
	v_mov_b32_e32 v12, v10
.LBB0_9:                                ;   in Loop: Header=BB0_3 Depth=1
	s_delay_alu instid0(VALU_DEP_1) | instskip(SKIP_1) | instid1(VALU_DEP_1)
	v_mul_f32_e32 v10, v12, v12
	s_and_not1_b32 vcc_lo, exec_lo, s25
	v_mul_f32_e32 v10, v5, v10
	s_waitcnt vmcnt(0)
	s_delay_alu instid0(VALU_DEP_1) | instskip(NEXT) | instid1(VALU_DEP_1)
	v_fmac_f32_e32 v10, s22, v13
	v_mov_b32_e32 v13, v10
	s_cbranch_vccnz .LBB0_2
; %bb.10:                               ;   in Loop: Header=BB0_3 Depth=1
	v_add_co_u32 v13, vcc_lo, s18, v3
	v_add_co_ci_u32_e32 v14, vcc_lo, s19, v4, vcc_lo
	global_load_b32 v13, v[13:14], off
	s_waitcnt vmcnt(0)
	v_dual_max_f32 v14, v10, v10 :: v_dual_max_f32 v13, v13, v13
	s_delay_alu instid0(VALU_DEP_1)
	v_max_f32_e32 v13, v13, v14
	v_add_co_u32 v14, vcc_lo, s30, v3
	v_add_co_ci_u32_e32 v15, vcc_lo, s31, v4, vcc_lo
	global_store_b32 v[14:15], v13, off
	s_branch .LBB0_2
.LBB0_11:
	s_nop 0
	s_sendmsg sendmsg(MSG_DEALLOC_VGPRS)
	s_endpgm
	.section	.rodata,"a",@progbits
	.p2align	6, 0x0
	.amdhsa_kernel AdamContiguous
		.amdhsa_group_segment_fixed_size 0
		.amdhsa_private_segment_fixed_size 0
		.amdhsa_kernarg_size 368
		.amdhsa_user_sgpr_count 15
		.amdhsa_user_sgpr_dispatch_ptr 0
		.amdhsa_user_sgpr_queue_ptr 0
		.amdhsa_user_sgpr_kernarg_segment_ptr 1
		.amdhsa_user_sgpr_dispatch_id 0
		.amdhsa_user_sgpr_private_segment_size 0
		.amdhsa_wavefront_size32 1
		.amdhsa_uses_dynamic_stack 0
		.amdhsa_enable_private_segment 0
		.amdhsa_system_sgpr_workgroup_id_x 1
		.amdhsa_system_sgpr_workgroup_id_y 0
		.amdhsa_system_sgpr_workgroup_id_z 0
		.amdhsa_system_sgpr_workgroup_info 0
		.amdhsa_system_vgpr_workitem_id 0
		.amdhsa_next_free_vgpr 33
		.amdhsa_next_free_sgpr 84
		.amdhsa_reserve_vcc 1
		.amdhsa_float_round_mode_32 0
		.amdhsa_float_round_mode_16_64 0
		.amdhsa_float_denorm_mode_32 3
		.amdhsa_float_denorm_mode_16_64 3
		.amdhsa_dx10_clamp 1
		.amdhsa_ieee_mode 1
		.amdhsa_fp16_overflow 0
		.amdhsa_workgroup_processor_mode 1
		.amdhsa_memory_ordered 1
		.amdhsa_forward_progress 0
		.amdhsa_shared_vgpr_count 0
		.amdhsa_exception_fp_ieee_invalid_op 0
		.amdhsa_exception_fp_denorm_src 0
		.amdhsa_exception_fp_ieee_div_zero 0
		.amdhsa_exception_fp_ieee_overflow 0
		.amdhsa_exception_fp_ieee_underflow 0
		.amdhsa_exception_fp_ieee_inexact 0
		.amdhsa_exception_int_div_zero 0
	.end_amdhsa_kernel
	.text
.Lfunc_end0:
	.size	AdamContiguous, .Lfunc_end0-AdamContiguous
                                        ; -- End function
	.section	.AMDGPU.csdata,"",@progbits
; Kernel info:
; codeLenInByte = 5008
; NumSgprs: 86
; NumVgprs: 33
; ScratchSize: 0
; MemoryBound: 0
; FloatMode: 240
; IeeeMode: 1
; LDSByteSize: 0 bytes/workgroup (compile time only)
; SGPRBlocks: 10
; VGPRBlocks: 4
; NumSGPRsForWavesPerEU: 86
; NumVGPRsForWavesPerEU: 33
; Occupancy: 16
; WaveLimiterHint : 0
; COMPUTE_PGM_RSRC2:SCRATCH_EN: 0
; COMPUTE_PGM_RSRC2:USER_SGPR: 15
; COMPUTE_PGM_RSRC2:TRAP_HANDLER: 0
; COMPUTE_PGM_RSRC2:TGID_X_EN: 1
; COMPUTE_PGM_RSRC2:TGID_Y_EN: 0
; COMPUTE_PGM_RSRC2:TGID_Z_EN: 0
; COMPUTE_PGM_RSRC2:TIDIG_COMP_CNT: 0
	.text
	.protected	AmpAdamContiguousWithStep ; -- Begin function AmpAdamContiguousWithStep
	.globl	AmpAdamContiguousWithStep
	.p2align	8
	.type	AmpAdamContiguousWithStep,@function
AmpAdamContiguousWithStep:              ; @AmpAdamContiguousWithStep
; %bb.0:
	s_clause 0x1
	s_load_b32 s4, s[0:1], 0x94
	s_load_b64 s[10:11], s[0:1], 0x80
	s_add_u32 s2, s0, 0x88
	s_addc_u32 s3, s1, 0
	s_waitcnt lgkmcnt(0)
	s_and_b32 s4, s4, 0xffff
	s_delay_alu instid0(SALU_CYCLE_1) | instskip(SKIP_2) | instid1(VALU_DEP_1)
	v_mad_u64_u32 v[1:2], null, s15, s4, v[0:1]
	v_mov_b32_e32 v2, 0
	s_mov_b32 s4, exec_lo
	v_cmpx_gt_u64_e64 s[10:11], v[1:2]
	s_cbranch_execz .LBB1_34
; %bb.1:
	s_clause 0x2
	s_load_b64 s[34:35], s[0:1], 0x78
	s_load_b256 s[36:43], s[0:1], 0x40
	s_load_b512 s[16:31], s[0:1], 0x0
	s_load_b32 s96, s[2:3], 0x0
	s_waitcnt lgkmcnt(0)
	s_bitcmp1_b32 s35, 0
	s_cselect_b32 s33, -1, 0
	s_cmp_eq_u64 s[42:43], 0
	s_cselect_b32 s4, -1, 0
	s_delay_alu instid0(SALU_CYCLE_1)
	s_and_b32 vcc_lo, exec_lo, s4
	s_cbranch_vccnz .LBB1_17
; %bb.2:
	v_mov_b32_e32 v2, 0
	global_load_u8 v1, v2, s[42:43]
	s_waitcnt vmcnt(0)
	v_cmp_ne_u16_e32 vcc_lo, 0, v1
	s_cbranch_vccz .LBB1_33
; %bb.3:
	s_cmp_lt_u32 s15, s96
	s_mov_b32 s14, exec_lo
	s_cselect_b32 s4, 12, 18
	s_delay_alu instid0(SALU_CYCLE_1)
	s_add_u32 s4, s2, s4
	s_addc_u32 s5, s3, 0
	global_load_u16 v5, v2, s[4:5]
	s_waitcnt vmcnt(0)
	v_mad_u64_u32 v[3:4], null, s15, v5, v[0:1]
	v_readfirstlane_b32 s4, v5
	s_delay_alu instid0(VALU_DEP_2) | instskip(NEXT) | instid1(VALU_DEP_1)
	v_mov_b32_e32 v1, v3
	v_cmpx_gt_u64_e64 s[10:11], v[1:2]
	s_cbranch_execz .LBB1_16
; %bb.4:
	s_cmp_lg_u64 s[16:17], s[18:19]
	v_lshlrev_b64 v[5:6], 1, v[1:2]
	s_cselect_b32 s35, -1, 0
	s_cmp_lg_u64 s[20:21], 0
	v_lshlrev_b64 v[3:4], 2, v[1:2]
	s_cselect_b32 s56, -1, 0
	s_cmp_lg_u64 s[24:25], s[26:27]
	v_add_co_u32 v5, vcc_lo, s20, v5
	s_cselect_b32 s57, -1, 0
	s_cmp_lg_u64 s[28:29], s[30:31]
	v_add_co_ci_u32_e32 v6, vcc_lo, s21, v6, vcc_lo
	s_cselect_b32 s58, -1, 0
	s_cmp_lg_u64 s[36:37], s[38:39]
	s_mul_i32 s4, s96, s4
	s_mov_b32 s5, 0
	s_cselect_b32 s12, -1, 0
	s_lshl_b64 s[6:7], s[4:5], 2
	s_lshl_b64 s[8:9], s[4:5], 1
	s_and_b32 s59, s12, s33
	s_mov_b64 s[12:13], s[38:39]
	s_mov_b64 s[42:43], s[36:37]
	;; [unrolled: 1-line block ×8, first 2 shown]
	s_branch .LBB1_6
.LBB1_5:                                ;   in Loop: Header=BB1_6 Depth=1
	s_add_u32 s54, s54, s6
	s_addc_u32 s55, s55, s7
	s_add_u32 s52, s52, s6
	v_add_co_u32 v1, vcc_lo, v1, s4
	s_addc_u32 s53, s53, s7
	s_add_u32 s50, s50, s6
	v_add_co_ci_u32_e32 v2, vcc_lo, 0, v2, vcc_lo
	s_addc_u32 s51, s51, s7
	s_add_u32 s48, s48, s6
	v_add_co_u32 v5, vcc_lo, v5, s8
	s_addc_u32 s49, s49, s7
	s_add_u32 s46, s46, s6
	v_add_co_ci_u32_e32 v6, vcc_lo, s9, v6, vcc_lo
	s_addc_u32 s47, s47, s7
	s_add_u32 s44, s44, s6
	v_cmp_le_u64_e32 vcc_lo, s[10:11], v[1:2]
	s_addc_u32 s45, s45, s7
	s_add_u32 s42, s42, s6
	s_addc_u32 s43, s43, s7
	s_add_u32 s12, s12, s6
	s_addc_u32 s13, s13, s7
	s_or_b32 s5, vcc_lo, s5
	s_delay_alu instid0(SALU_CYCLE_1)
	s_and_not1_b32 exec_lo, exec_lo, s5
	s_cbranch_execz .LBB1_16
.LBB1_6:                                ; =>This Inner Loop Header: Depth=1
	s_and_not1_b32 vcc_lo, exec_lo, s35
	s_cbranch_vccnz .LBB1_8
; %bb.7:                                ;   in Loop: Header=BB1_6 Depth=1
	v_add_co_u32 v7, vcc_lo, s54, v3
	v_add_co_ci_u32_e32 v8, vcc_lo, s55, v4, vcc_lo
	global_load_b32 v9, v[7:8], off
	v_add_co_u32 v7, vcc_lo, s52, v3
	v_add_co_ci_u32_e32 v8, vcc_lo, s53, v4, vcc_lo
	s_waitcnt vmcnt(0)
	global_store_b32 v[7:8], v9, off
.LBB1_8:                                ;   in Loop: Header=BB1_6 Depth=1
	s_and_not1_b32 vcc_lo, exec_lo, s56
	s_cbranch_vccnz .LBB1_10
; %bb.9:                                ;   in Loop: Header=BB1_6 Depth=1
	v_add_co_u32 v7, vcc_lo, s54, v3
	v_add_co_ci_u32_e32 v8, vcc_lo, s55, v4, vcc_lo
	global_load_b32 v7, v[7:8], off
	s_waitcnt vmcnt(0)
	v_cvt_f16_f32_e32 v7, v7
	global_store_b16 v[5:6], v7, off
.LBB1_10:                               ;   in Loop: Header=BB1_6 Depth=1
	s_and_not1_b32 vcc_lo, exec_lo, s57
	s_cbranch_vccnz .LBB1_12
; %bb.11:                               ;   in Loop: Header=BB1_6 Depth=1
	v_add_co_u32 v7, vcc_lo, s50, v3
	v_add_co_ci_u32_e32 v8, vcc_lo, s51, v4, vcc_lo
	global_load_b32 v9, v[7:8], off
	v_add_co_u32 v7, vcc_lo, s48, v3
	v_add_co_ci_u32_e32 v8, vcc_lo, s49, v4, vcc_lo
	s_waitcnt vmcnt(0)
	global_store_b32 v[7:8], v9, off
.LBB1_12:                               ;   in Loop: Header=BB1_6 Depth=1
	s_and_not1_b32 vcc_lo, exec_lo, s58
	s_cbranch_vccnz .LBB1_14
; %bb.13:                               ;   in Loop: Header=BB1_6 Depth=1
	v_add_co_u32 v7, vcc_lo, s46, v3
	v_add_co_ci_u32_e32 v8, vcc_lo, s47, v4, vcc_lo
	global_load_b32 v9, v[7:8], off
	v_add_co_u32 v7, vcc_lo, s44, v3
	v_add_co_ci_u32_e32 v8, vcc_lo, s45, v4, vcc_lo
	s_waitcnt vmcnt(0)
	global_store_b32 v[7:8], v9, off
.LBB1_14:                               ;   in Loop: Header=BB1_6 Depth=1
	s_and_not1_b32 vcc_lo, exec_lo, s59
	s_cbranch_vccnz .LBB1_5
; %bb.15:                               ;   in Loop: Header=BB1_6 Depth=1
	v_add_co_u32 v7, vcc_lo, s42, v3
	v_add_co_ci_u32_e32 v8, vcc_lo, s43, v4, vcc_lo
	global_load_b32 v9, v[7:8], off
	v_add_co_u32 v7, vcc_lo, s12, v3
	v_add_co_ci_u32_e32 v8, vcc_lo, s13, v4, vcc_lo
	s_waitcnt vmcnt(0)
	global_store_b32 v[7:8], v9, off
	s_branch .LBB1_5
.LBB1_16:
	s_or_b32 exec_lo, exec_lo, s14
	s_mov_b32 s4, 0
.LBB1_17:
	s_delay_alu instid0(SALU_CYCLE_1)
	s_and_b32 vcc_lo, exec_lo, s4
	s_cbranch_vccz .LBB1_34
.LBB1_18:
	s_cmp_lt_u32 s15, s96
	v_dual_mov_b32 v1, 0 :: v_dual_mov_b32 v8, 1.0
	s_cselect_b32 s4, 12, 18
	s_delay_alu instid0(SALU_CYCLE_1)
	s_add_u32 s2, s2, s4
	s_addc_u32 s3, s3, 0
	s_load_b64 s[4:5], s[0:1], 0x60
	global_load_u16 v2, v1, s[2:3]
	s_cmp_eq_u64 s[40:41], 0
	s_cselect_b32 s2, -1, 0
	s_delay_alu instid0(SALU_CYCLE_1)
	s_and_b32 vcc_lo, exec_lo, s2
	s_waitcnt vmcnt(0)
	v_readfirstlane_b32 s3, v2
	s_cbranch_vccnz .LBB1_20
; %bb.19:
	s_load_b32 s6, s[40:41], 0x0
	s_waitcnt lgkmcnt(0)
	v_cvt_f32_i32_e32 v8, s6
.LBB1_20:
	s_delay_alu instid0(VALU_DEP_1) | instskip(NEXT) | instid1(SALU_CYCLE_1)
	s_and_b32 s40, 0xffff, s3
	v_mad_u64_u32 v[2:3], null, s15, s40, v[0:1]
	s_delay_alu instid0(VALU_DEP_1) | instskip(NEXT) | instid1(VALU_DEP_1)
	v_mov_b32_e32 v0, v2
	v_cmp_gt_u64_e32 vcc_lo, s[10:11], v[0:1]
	s_and_b32 exec_lo, exec_lo, vcc_lo
	s_cbranch_execz .LBB1_34
; %bb.21:
	s_waitcnt lgkmcnt(0)
	s_load_b32 s3, s[4:5], 0x0
	s_clause 0x1
	s_load_b128 s[12:15], s[0:1], 0x68
	s_load_b32 s5, s[0:1], 0x7c
	s_mov_b32 s42, 0x55555555
	s_mov_b32 s43, 0x3fe55555
	;; [unrolled: 1-line block ×18, first 2 shown]
	s_waitcnt lgkmcnt(0)
	s_add_i32 s3, s3, 1
	v_cmp_neq_f32_e64 vcc_lo, s14, 1.0
	v_cvt_f64_u32_e32 v[4:5], s3
	v_cvt_f64_f32_e32 v[2:3], s14
	s_bitcmp1_b32 s5, 8
	s_mov_b32 s58, 0x924920da
	s_cselect_b32 s35, -1, 0
	s_bitcmp1_b32 s5, 16
	s_mov_b32 s59, 0x3fd24924
	s_cselect_b32 s5, -1, 0
	s_mov_b32 s60, 0x9999999c
	s_xor_b32 s97, s5, -1
	s_mov_b32 s61, 0x3fd99999
	s_mov_b32 s65, 0xbfe55555
	;; [unrolled: 1-line block ×28, first 2 shown]
	v_cndmask_b32_e32 v7, 0x3ff00000, v5, vcc_lo
	v_cndmask_b32_e32 v6, 0, v4, vcc_lo
	s_mov_b32 s89, 0x3f811111
	s_mov_b32 s90, 0x555502a1
	;; [unrolled: 1-line block ×4, first 2 shown]
	v_cmp_neq_f64_e32 vcc_lo, 0, v[6:7]
	v_mul_f64 v[9:10], v[6:7], 0.5
	v_trunc_f64_e32 v[11:12], v[6:7]
	s_mov_b32 s93, 0x3fc55555
	s_mov_b32 s94, 11
	;; [unrolled: 1-line block ×4, first 2 shown]
	s_mul_i32 s40, s96, s40
	v_cndmask_b32_e32 v3, 0x3ff00000, v3, vcc_lo
	v_cndmask_b32_e32 v2, 0, v2, vcc_lo
	s_delay_alu instid0(VALU_DEP_4) | instskip(NEXT) | instid1(VALU_DEP_4)
	v_trunc_f64_e32 v[13:14], v[9:10]
	v_cmp_eq_f64_e64 s1, v[11:12], v[6:7]
	s_delay_alu instid0(VALU_DEP_3)
	v_frexp_mant_f64_e64 v[15:16], |v[2:3]|
	v_cmp_class_f64_e64 s7, v[2:3], 0x204
	v_cmp_eq_f64_e64 s0, 0, v[2:3]
	v_frexp_exp_i32_f64_e32 v2, v[2:3]
	v_cmp_neq_f64_e64 s3, v[13:14], v[9:10]
	v_cmp_gt_f64_e64 s4, s[42:43], v[15:16]
	s_delay_alu instid0(VALU_DEP_4) | instskip(SKIP_2) | instid1(VALU_DEP_2)
	s_or_b32 vcc_lo, s7, s0
	s_and_b32 s0, s0, exec_lo
	s_cselect_b32 s98, 0, 0x7ff00000
	s_and_b32 s0, s1, s3
	s_delay_alu instid0(VALU_DEP_1) | instskip(SKIP_1) | instid1(VALU_DEP_3)
	s_and_b32 s1, s4, exec_lo
	s_cselect_b32 s7, 2.0, 0x3ff00000
	v_subrev_co_ci_u32_e64 v2, s5, 0, v2, s4
	v_mul_f64 v[9:10], v[15:16], s[6:7]
	s_delay_alu instid0(VALU_DEP_1) | instskip(SKIP_1) | instid1(VALU_DEP_2)
	v_add_f64 v[11:12], v[9:10], 1.0
	v_add_f64 v[17:18], v[9:10], -1.0
	v_rcp_f64_e32 v[13:14], v[11:12]
	v_add_f64 v[19:20], v[11:12], -1.0
	s_delay_alu instid0(VALU_DEP_1) | instskip(SKIP_2) | instid1(VALU_DEP_1)
	v_add_f64 v[9:10], v[9:10], -v[19:20]
	s_waitcnt_depctr 0xfff
	v_fma_f64 v[15:16], -v[11:12], v[13:14], 1.0
	v_fma_f64 v[13:14], v[15:16], v[13:14], v[13:14]
	s_delay_alu instid0(VALU_DEP_1) | instskip(NEXT) | instid1(VALU_DEP_1)
	v_fma_f64 v[15:16], -v[11:12], v[13:14], 1.0
	v_fma_f64 v[13:14], v[15:16], v[13:14], v[13:14]
	s_delay_alu instid0(VALU_DEP_1) | instskip(NEXT) | instid1(VALU_DEP_1)
	v_mul_f64 v[15:16], v[17:18], v[13:14]
	v_mul_f64 v[21:22], v[11:12], v[15:16]
	s_delay_alu instid0(VALU_DEP_1) | instskip(NEXT) | instid1(VALU_DEP_1)
	v_fma_f64 v[11:12], v[15:16], v[11:12], -v[21:22]
	v_fma_f64 v[9:10], v[15:16], v[9:10], v[11:12]
	s_delay_alu instid0(VALU_DEP_1) | instskip(NEXT) | instid1(VALU_DEP_1)
	v_add_f64 v[11:12], v[21:22], v[9:10]
	v_add_f64 v[19:20], v[17:18], -v[11:12]
	v_add_f64 v[21:22], v[11:12], -v[21:22]
	s_delay_alu instid0(VALU_DEP_2) | instskip(NEXT) | instid1(VALU_DEP_2)
	v_add_f64 v[17:18], v[17:18], -v[19:20]
	v_add_f64 v[9:10], v[21:22], -v[9:10]
	s_delay_alu instid0(VALU_DEP_2) | instskip(NEXT) | instid1(VALU_DEP_1)
	v_add_f64 v[11:12], v[17:18], -v[11:12]
	v_add_f64 v[9:10], v[9:10], v[11:12]
	s_delay_alu instid0(VALU_DEP_1) | instskip(NEXT) | instid1(VALU_DEP_1)
	v_add_f64 v[9:10], v[19:20], v[9:10]
	v_mul_f64 v[9:10], v[13:14], v[9:10]
	s_delay_alu instid0(VALU_DEP_1) | instskip(NEXT) | instid1(VALU_DEP_1)
	v_add_f64 v[11:12], v[15:16], v[9:10]
	v_add_f64 v[13:14], v[11:12], -v[15:16]
	v_mul_f64 v[15:16], v[11:12], v[11:12]
	s_delay_alu instid0(VALU_DEP_2) | instskip(NEXT) | instid1(VALU_DEP_2)
	v_add_f64 v[9:10], v[9:10], -v[13:14]
	v_fma_f64 v[13:14], v[11:12], v[11:12], -v[15:16]
	s_delay_alu instid0(VALU_DEP_2) | instskip(NEXT) | instid1(VALU_DEP_1)
	v_add_f64 v[17:18], v[9:10], v[9:10]
	v_fma_f64 v[13:14], v[11:12], v[17:18], v[13:14]
	s_delay_alu instid0(VALU_DEP_1) | instskip(NEXT) | instid1(VALU_DEP_1)
	v_add_f64 v[17:18], v[15:16], v[13:14]
	v_fma_f64 v[19:20], v[17:18], s[46:47], s[44:45]
	v_add_f64 v[15:16], v[17:18], -v[15:16]
	v_mul_f64 v[25:26], v[11:12], v[17:18]
	s_delay_alu instid0(VALU_DEP_3) | instskip(NEXT) | instid1(VALU_DEP_3)
	v_fma_f64 v[19:20], v[17:18], v[19:20], s[48:49]
	v_add_f64 v[13:14], v[13:14], -v[15:16]
	s_delay_alu instid0(VALU_DEP_3) | instskip(NEXT) | instid1(VALU_DEP_3)
	v_fma_f64 v[27:28], v[17:18], v[11:12], -v[25:26]
	v_fma_f64 v[19:20], v[17:18], v[19:20], s[50:51]
	s_delay_alu instid0(VALU_DEP_1) | instskip(NEXT) | instid1(VALU_DEP_1)
	v_fma_f64 v[19:20], v[17:18], v[19:20], s[52:53]
	v_fma_f64 v[19:20], v[17:18], v[19:20], s[54:55]
	s_delay_alu instid0(VALU_DEP_1) | instskip(NEXT) | instid1(VALU_DEP_1)
	v_fma_f64 v[19:20], v[17:18], v[19:20], s[56:57]
	;; [unrolled: 3-line block ×3, first 2 shown]
	v_mul_f64 v[21:22], v[17:18], v[19:20]
	s_delay_alu instid0(VALU_DEP_1) | instskip(SKIP_2) | instid1(VALU_DEP_3)
	v_fma_f64 v[15:16], v[17:18], v[19:20], -v[21:22]
	v_fma_f64 v[17:18], v[17:18], v[9:10], v[27:28]
	v_ldexp_f64 v[9:10], v[9:10], 1
	v_fma_f64 v[15:16], v[13:14], v[19:20], v[15:16]
	s_delay_alu instid0(VALU_DEP_3) | instskip(SKIP_1) | instid1(VALU_DEP_3)
	v_fma_f64 v[13:14], v[13:14], v[11:12], v[17:18]
	v_ldexp_f64 v[11:12], v[11:12], 1
	v_add_f64 v[19:20], v[21:22], v[15:16]
	s_delay_alu instid0(VALU_DEP_1) | instskip(SKIP_1) | instid1(VALU_DEP_2)
	v_add_f64 v[21:22], v[19:20], -v[21:22]
	v_add_f64 v[23:24], v[19:20], s[42:43]
	v_add_f64 v[15:16], v[15:16], -v[21:22]
	s_delay_alu instid0(VALU_DEP_2) | instskip(NEXT) | instid1(VALU_DEP_2)
	v_add_f64 v[21:22], v[23:24], s[64:65]
	v_add_f64 v[15:16], v[15:16], s[66:67]
	s_delay_alu instid0(VALU_DEP_2) | instskip(NEXT) | instid1(VALU_DEP_1)
	v_add_f64 v[19:20], v[19:20], -v[21:22]
	v_add_f64 v[15:16], v[15:16], v[19:20]
	v_add_f64 v[19:20], v[25:26], v[13:14]
	s_delay_alu instid0(VALU_DEP_2) | instskip(NEXT) | instid1(VALU_DEP_2)
	v_add_f64 v[17:18], v[23:24], v[15:16]
	v_add_f64 v[25:26], v[19:20], -v[25:26]
	s_delay_alu instid0(VALU_DEP_2) | instskip(SKIP_1) | instid1(VALU_DEP_3)
	v_add_f64 v[21:22], v[23:24], -v[17:18]
	v_mul_f64 v[23:24], v[19:20], v[17:18]
	v_add_f64 v[13:14], v[13:14], -v[25:26]
	s_delay_alu instid0(VALU_DEP_3) | instskip(NEXT) | instid1(VALU_DEP_3)
	v_add_f64 v[15:16], v[15:16], v[21:22]
	v_fma_f64 v[21:22], v[19:20], v[17:18], -v[23:24]
	s_delay_alu instid0(VALU_DEP_1) | instskip(NEXT) | instid1(VALU_DEP_1)
	v_fma_f64 v[15:16], v[19:20], v[15:16], v[21:22]
	v_fma_f64 v[13:14], v[13:14], v[17:18], v[15:16]
	v_cvt_f64_i32_e32 v[17:18], v2
	s_delay_alu instid0(VALU_DEP_2) | instskip(NEXT) | instid1(VALU_DEP_1)
	v_add_f64 v[15:16], v[23:24], v[13:14]
	v_add_f64 v[19:20], v[15:16], -v[23:24]
	v_add_f64 v[21:22], v[11:12], v[15:16]
	s_delay_alu instid0(VALU_DEP_4) | instskip(NEXT) | instid1(VALU_DEP_3)
	v_mul_f64 v[23:24], v[17:18], s[62:63]
	v_add_f64 v[13:14], v[13:14], -v[19:20]
	s_delay_alu instid0(VALU_DEP_3) | instskip(NEXT) | instid1(VALU_DEP_3)
	v_add_f64 v[11:12], v[21:22], -v[11:12]
	v_fma_f64 v[19:20], v[17:18], s[62:63], -v[23:24]
	s_delay_alu instid0(VALU_DEP_3) | instskip(NEXT) | instid1(VALU_DEP_3)
	v_add_f64 v[9:10], v[9:10], v[13:14]
	v_add_f64 v[11:12], v[15:16], -v[11:12]
	s_delay_alu instid0(VALU_DEP_3) | instskip(NEXT) | instid1(VALU_DEP_2)
	v_fma_f64 v[13:14], v[17:18], s[68:69], v[19:20]
	v_add_f64 v[9:10], v[9:10], v[11:12]
	s_delay_alu instid0(VALU_DEP_2) | instskip(NEXT) | instid1(VALU_DEP_2)
	v_add_f64 v[11:12], v[23:24], v[13:14]
	v_add_f64 v[15:16], v[21:22], v[9:10]
	s_delay_alu instid0(VALU_DEP_2) | instskip(NEXT) | instid1(VALU_DEP_2)
	v_add_f64 v[23:24], v[11:12], -v[23:24]
	v_add_f64 v[17:18], v[11:12], v[15:16]
	v_add_f64 v[21:22], v[15:16], -v[21:22]
	s_delay_alu instid0(VALU_DEP_3) | instskip(NEXT) | instid1(VALU_DEP_3)
	v_add_f64 v[13:14], v[13:14], -v[23:24]
	v_add_f64 v[19:20], v[17:18], -v[11:12]
	s_delay_alu instid0(VALU_DEP_3) | instskip(NEXT) | instid1(VALU_DEP_2)
	v_add_f64 v[9:10], v[9:10], -v[21:22]
	v_add_f64 v[25:26], v[17:18], -v[19:20]
	;; [unrolled: 1-line block ×3, first 2 shown]
	s_delay_alu instid0(VALU_DEP_3) | instskip(NEXT) | instid1(VALU_DEP_3)
	v_add_f64 v[19:20], v[13:14], v[9:10]
	v_add_f64 v[11:12], v[11:12], -v[25:26]
	s_delay_alu instid0(VALU_DEP_1) | instskip(NEXT) | instid1(VALU_DEP_3)
	v_add_f64 v[11:12], v[15:16], v[11:12]
	v_add_f64 v[15:16], v[19:20], -v[13:14]
	s_delay_alu instid0(VALU_DEP_2) | instskip(NEXT) | instid1(VALU_DEP_2)
	v_add_f64 v[11:12], v[19:20], v[11:12]
	v_add_f64 v[19:20], v[19:20], -v[15:16]
	v_add_f64 v[9:10], v[9:10], -v[15:16]
	s_delay_alu instid0(VALU_DEP_3) | instskip(NEXT) | instid1(VALU_DEP_3)
	v_add_f64 v[21:22], v[17:18], v[11:12]
	v_add_f64 v[13:14], v[13:14], -v[19:20]
	s_delay_alu instid0(VALU_DEP_2) | instskip(NEXT) | instid1(VALU_DEP_2)
	v_add_f64 v[15:16], v[21:22], -v[17:18]
	v_add_f64 v[9:10], v[9:10], v[13:14]
	s_delay_alu instid0(VALU_DEP_2) | instskip(NEXT) | instid1(VALU_DEP_1)
	v_add_f64 v[11:12], v[11:12], -v[15:16]
	v_add_f64 v[9:10], v[9:10], v[11:12]
	s_delay_alu instid0(VALU_DEP_1) | instskip(NEXT) | instid1(VALU_DEP_1)
	v_add_f64 v[11:12], v[21:22], v[9:10]
	v_add_f64 v[13:14], v[11:12], -v[21:22]
	v_mul_f64 v[15:16], v[6:7], v[11:12]
	s_delay_alu instid0(VALU_DEP_2) | instskip(NEXT) | instid1(VALU_DEP_2)
	v_add_f64 v[9:10], v[9:10], -v[13:14]
	v_fma_f64 v[11:12], v[6:7], v[11:12], -v[15:16]
	v_cmp_class_f64_e64 s1, v[15:16], 0x204
	s_delay_alu instid0(VALU_DEP_2) | instskip(NEXT) | instid1(VALU_DEP_1)
	v_fma_f64 v[6:7], v[6:7], v[9:10], v[11:12]
	v_add_f64 v[9:10], v[15:16], v[6:7]
	s_delay_alu instid0(VALU_DEP_1) | instskip(NEXT) | instid1(VALU_DEP_2)
	v_cndmask_b32_e64 v12, v10, v16, s1
	v_cndmask_b32_e64 v11, v9, v15, s1
	v_cmp_neq_f32_e64 s1, s13, 1.0
	v_add_f64 v[9:10], v[9:10], -v[15:16]
	s_delay_alu instid0(VALU_DEP_3) | instskip(NEXT) | instid1(VALU_DEP_3)
	v_mul_f64 v[13:14], v[11:12], s[70:71]
	v_cndmask_b32_e64 v5, 0x3ff00000, v5, s1
	v_cndmask_b32_e64 v4, 0, v4, s1
	v_cmp_lt_f64_e64 s3, 0x40900000, v[11:12]
	v_cmp_ngt_f64_e64 s4, 0xc090cc00, v[11:12]
	s_delay_alu instid0(VALU_DEP_3) | instskip(SKIP_2) | instid1(VALU_DEP_1)
	v_cmp_neq_f64_e64 s1, 0, v[4:5]
	v_add_f64 v[6:7], v[6:7], -v[9:10]
	v_rndne_f64_e32 v[13:14], v[13:14]
	v_fma_f64 v[17:18], v[13:14], s[72:73], v[11:12]
	v_cvt_i32_f64_e32 v2, v[13:14]
	s_delay_alu instid0(VALU_DEP_2) | instskip(NEXT) | instid1(VALU_DEP_1)
	v_fma_f64 v[17:18], v[13:14], s[74:75], v[17:18]
	v_fma_f64 v[19:20], v[17:18], s[78:79], s[76:77]
	s_delay_alu instid0(VALU_DEP_1) | instskip(NEXT) | instid1(VALU_DEP_1)
	v_fma_f64 v[19:20], v[17:18], v[19:20], s[80:81]
	v_fma_f64 v[19:20], v[17:18], v[19:20], s[82:83]
	s_delay_alu instid0(VALU_DEP_1) | instskip(NEXT) | instid1(VALU_DEP_1)
	;; [unrolled: 3-line block ×5, first 2 shown]
	v_fma_f64 v[19:20], v[17:18], v[19:20], 1.0
	v_fma_f64 v[13:14], v[17:18], v[19:20], 1.0
	v_cvt_f64_f32_e32 v[17:18], s13
	v_mul_f64 v[19:20], v[4:5], 0.5
	s_delay_alu instid0(VALU_DEP_3) | instskip(NEXT) | instid1(VALU_DEP_3)
	v_ldexp_f64 v[13:14], v[13:14], v2
	v_cndmask_b32_e64 v16, 0x3ff00000, v18, s1
	s_delay_alu instid0(VALU_DEP_4) | instskip(SKIP_3) | instid1(VALU_DEP_4)
	v_cndmask_b32_e64 v15, 0, v17, s1
	v_trunc_f64_e32 v[17:18], v[4:5]
	v_trunc_f64_e32 v[21:22], v[19:20]
	v_cmp_neq_f64_e64 s1, 0x7ff00000, |v[11:12]|
	v_frexp_mant_f64_e64 v[23:24], |v[15:16]|
	v_frexp_exp_i32_f64_e32 v11, v[15:16]
	v_cmp_class_f64_e64 s99, v[15:16], 0x204
	v_cmp_eq_f64_e64 s5, 0, v[15:16]
	v_dual_mov_b32 v9, v13 :: v_dual_and_b32 v10, 0x7fffffff, v14
	v_cndmask_b32_e64 v2, v13, 0, s3
	v_cmp_eq_f64_e64 s7, v[17:18], v[4:5]
	v_cmp_neq_f64_e64 s8, v[21:22], v[19:20]
	v_cndmask_b32_e64 v13, v14, 0x7ff00000, s3
	v_cmp_eq_f64_e64 s6, 0x7ff00000, v[9:10]
	v_cmp_gt_f64_e64 s9, s[42:43], v[23:24]
	v_cndmask_b32_e64 v7, 0, v7, s1
	v_cndmask_b32_e64 v6, 0, v6, s1
	;; [unrolled: 1-line block ×4, first 2 shown]
	s_delay_alu instid0(VALU_DEP_1)
	v_fma_f64 v[6:7], v[9:10], v[6:7], v[9:10]
	s_or_b32 s3, s3, s6
	v_subrev_co_ci_u32_e64 v2, s1, 0, v11, s9
	s_or_b32 s1, s99, s5
	s_and_b32 s3, s4, s3
	s_and_b32 s4, s5, exec_lo
	s_cselect_b32 s99, 0, 0x7ff00000
	s_and_b32 s4, s7, s8
	s_and_b32 s5, s9, exec_lo
	s_cselect_b32 s101, 2.0, 0x3ff00000
	s_delay_alu instid0(VALU_DEP_2) | instskip(SKIP_1) | instid1(VALU_DEP_4)
	v_cndmask_b32_e64 v7, v7, v10, s3
	v_mul_f64 v[11:12], v[23:24], s[100:101]
	v_cndmask_b32_e64 v6, v6, v9, s3
	s_delay_alu instid0(VALU_DEP_2) | instskip(SKIP_1) | instid1(VALU_DEP_2)
	v_add_f64 v[13:14], v[11:12], 1.0
	v_add_f64 v[21:22], v[11:12], -1.0
	v_rcp_f64_e32 v[17:18], v[13:14]
	v_add_f64 v[23:24], v[13:14], -1.0
	s_delay_alu instid0(VALU_DEP_1) | instskip(SKIP_2) | instid1(VALU_DEP_1)
	v_add_f64 v[11:12], v[11:12], -v[23:24]
	s_waitcnt_depctr 0xfff
	v_fma_f64 v[19:20], -v[13:14], v[17:18], 1.0
	v_fma_f64 v[17:18], v[19:20], v[17:18], v[17:18]
	s_delay_alu instid0(VALU_DEP_1) | instskip(NEXT) | instid1(VALU_DEP_1)
	v_fma_f64 v[19:20], -v[13:14], v[17:18], 1.0
	v_fma_f64 v[17:18], v[19:20], v[17:18], v[17:18]
	s_delay_alu instid0(VALU_DEP_1) | instskip(NEXT) | instid1(VALU_DEP_1)
	v_mul_f64 v[19:20], v[21:22], v[17:18]
	v_mul_f64 v[25:26], v[13:14], v[19:20]
	s_delay_alu instid0(VALU_DEP_1) | instskip(NEXT) | instid1(VALU_DEP_1)
	v_fma_f64 v[13:14], v[19:20], v[13:14], -v[25:26]
	v_fma_f64 v[11:12], v[19:20], v[11:12], v[13:14]
	s_delay_alu instid0(VALU_DEP_1) | instskip(NEXT) | instid1(VALU_DEP_1)
	v_add_f64 v[13:14], v[25:26], v[11:12]
	v_add_f64 v[23:24], v[21:22], -v[13:14]
	v_add_f64 v[25:26], v[13:14], -v[25:26]
	s_delay_alu instid0(VALU_DEP_2) | instskip(NEXT) | instid1(VALU_DEP_2)
	v_add_f64 v[21:22], v[21:22], -v[23:24]
	v_add_f64 v[11:12], v[25:26], -v[11:12]
	s_delay_alu instid0(VALU_DEP_2) | instskip(NEXT) | instid1(VALU_DEP_1)
	v_add_f64 v[13:14], v[21:22], -v[13:14]
	v_add_f64 v[11:12], v[11:12], v[13:14]
	s_delay_alu instid0(VALU_DEP_1) | instskip(NEXT) | instid1(VALU_DEP_1)
	v_add_f64 v[11:12], v[23:24], v[11:12]
	v_mul_f64 v[11:12], v[17:18], v[11:12]
	s_delay_alu instid0(VALU_DEP_1) | instskip(NEXT) | instid1(VALU_DEP_1)
	v_add_f64 v[13:14], v[19:20], v[11:12]
	v_add_f64 v[17:18], v[13:14], -v[19:20]
	v_mul_f64 v[19:20], v[13:14], v[13:14]
	s_delay_alu instid0(VALU_DEP_2) | instskip(NEXT) | instid1(VALU_DEP_2)
	v_add_f64 v[11:12], v[11:12], -v[17:18]
	v_fma_f64 v[17:18], v[13:14], v[13:14], -v[19:20]
	s_delay_alu instid0(VALU_DEP_2) | instskip(NEXT) | instid1(VALU_DEP_1)
	v_add_f64 v[21:22], v[11:12], v[11:12]
	v_fma_f64 v[17:18], v[13:14], v[21:22], v[17:18]
	s_delay_alu instid0(VALU_DEP_1) | instskip(NEXT) | instid1(VALU_DEP_1)
	v_add_f64 v[21:22], v[19:20], v[17:18]
	v_fma_f64 v[23:24], v[21:22], s[46:47], s[44:45]
	v_add_f64 v[19:20], v[21:22], -v[19:20]
	v_mul_f64 v[29:30], v[13:14], v[21:22]
	s_delay_alu instid0(VALU_DEP_3) | instskip(NEXT) | instid1(VALU_DEP_3)
	v_fma_f64 v[23:24], v[21:22], v[23:24], s[48:49]
	v_add_f64 v[17:18], v[17:18], -v[19:20]
	s_delay_alu instid0(VALU_DEP_3) | instskip(NEXT) | instid1(VALU_DEP_3)
	v_fma_f64 v[31:32], v[21:22], v[13:14], -v[29:30]
	v_fma_f64 v[23:24], v[21:22], v[23:24], s[50:51]
	s_delay_alu instid0(VALU_DEP_1) | instskip(NEXT) | instid1(VALU_DEP_1)
	v_fma_f64 v[23:24], v[21:22], v[23:24], s[52:53]
	v_fma_f64 v[23:24], v[21:22], v[23:24], s[54:55]
	s_delay_alu instid0(VALU_DEP_1) | instskip(NEXT) | instid1(VALU_DEP_1)
	v_fma_f64 v[23:24], v[21:22], v[23:24], s[56:57]
	;; [unrolled: 3-line block ×3, first 2 shown]
	v_mul_f64 v[25:26], v[21:22], v[23:24]
	s_delay_alu instid0(VALU_DEP_1) | instskip(SKIP_2) | instid1(VALU_DEP_3)
	v_fma_f64 v[19:20], v[21:22], v[23:24], -v[25:26]
	v_fma_f64 v[21:22], v[21:22], v[11:12], v[31:32]
	v_ldexp_f64 v[11:12], v[11:12], 1
	v_fma_f64 v[19:20], v[17:18], v[23:24], v[19:20]
	s_delay_alu instid0(VALU_DEP_3) | instskip(SKIP_1) | instid1(VALU_DEP_3)
	v_fma_f64 v[17:18], v[17:18], v[13:14], v[21:22]
	v_ldexp_f64 v[13:14], v[13:14], 1
	v_add_f64 v[23:24], v[25:26], v[19:20]
	s_delay_alu instid0(VALU_DEP_1) | instskip(SKIP_1) | instid1(VALU_DEP_2)
	v_add_f64 v[25:26], v[23:24], -v[25:26]
	v_add_f64 v[27:28], v[23:24], s[42:43]
	v_add_f64 v[19:20], v[19:20], -v[25:26]
	s_delay_alu instid0(VALU_DEP_2) | instskip(NEXT) | instid1(VALU_DEP_2)
	v_add_f64 v[25:26], v[27:28], s[64:65]
	v_add_f64 v[19:20], v[19:20], s[66:67]
	s_delay_alu instid0(VALU_DEP_2) | instskip(NEXT) | instid1(VALU_DEP_1)
	v_add_f64 v[23:24], v[23:24], -v[25:26]
	v_add_f64 v[19:20], v[19:20], v[23:24]
	v_add_f64 v[23:24], v[29:30], v[17:18]
	s_delay_alu instid0(VALU_DEP_2) | instskip(NEXT) | instid1(VALU_DEP_2)
	v_add_f64 v[21:22], v[27:28], v[19:20]
	v_add_f64 v[29:30], v[23:24], -v[29:30]
	s_delay_alu instid0(VALU_DEP_2) | instskip(SKIP_1) | instid1(VALU_DEP_3)
	v_add_f64 v[25:26], v[27:28], -v[21:22]
	v_mul_f64 v[27:28], v[23:24], v[21:22]
	v_add_f64 v[17:18], v[17:18], -v[29:30]
	s_delay_alu instid0(VALU_DEP_3) | instskip(NEXT) | instid1(VALU_DEP_3)
	v_add_f64 v[19:20], v[19:20], v[25:26]
	v_fma_f64 v[25:26], v[23:24], v[21:22], -v[27:28]
	s_delay_alu instid0(VALU_DEP_1) | instskip(NEXT) | instid1(VALU_DEP_1)
	v_fma_f64 v[19:20], v[23:24], v[19:20], v[25:26]
	v_fma_f64 v[17:18], v[17:18], v[21:22], v[19:20]
	v_cvt_f64_i32_e32 v[21:22], v2
	s_delay_alu instid0(VALU_DEP_2) | instskip(NEXT) | instid1(VALU_DEP_1)
	v_add_f64 v[19:20], v[27:28], v[17:18]
	v_add_f64 v[23:24], v[19:20], -v[27:28]
	v_add_f64 v[25:26], v[13:14], v[19:20]
	s_delay_alu instid0(VALU_DEP_4) | instskip(NEXT) | instid1(VALU_DEP_3)
	v_mul_f64 v[27:28], v[21:22], s[62:63]
	v_add_f64 v[17:18], v[17:18], -v[23:24]
	s_delay_alu instid0(VALU_DEP_3) | instskip(NEXT) | instid1(VALU_DEP_3)
	v_add_f64 v[13:14], v[25:26], -v[13:14]
	v_fma_f64 v[23:24], v[21:22], s[62:63], -v[27:28]
	s_delay_alu instid0(VALU_DEP_3) | instskip(NEXT) | instid1(VALU_DEP_3)
	v_add_f64 v[11:12], v[11:12], v[17:18]
	v_add_f64 v[13:14], v[19:20], -v[13:14]
	s_delay_alu instid0(VALU_DEP_3) | instskip(NEXT) | instid1(VALU_DEP_2)
	v_fma_f64 v[17:18], v[21:22], s[68:69], v[23:24]
	v_add_f64 v[11:12], v[11:12], v[13:14]
	s_delay_alu instid0(VALU_DEP_2) | instskip(NEXT) | instid1(VALU_DEP_2)
	v_add_f64 v[13:14], v[27:28], v[17:18]
	v_add_f64 v[19:20], v[25:26], v[11:12]
	s_delay_alu instid0(VALU_DEP_2) | instskip(NEXT) | instid1(VALU_DEP_2)
	v_add_f64 v[27:28], v[13:14], -v[27:28]
	v_add_f64 v[21:22], v[13:14], v[19:20]
	v_add_f64 v[25:26], v[19:20], -v[25:26]
	s_delay_alu instid0(VALU_DEP_3) | instskip(NEXT) | instid1(VALU_DEP_3)
	v_add_f64 v[17:18], v[17:18], -v[27:28]
	v_add_f64 v[23:24], v[21:22], -v[13:14]
	s_delay_alu instid0(VALU_DEP_3) | instskip(NEXT) | instid1(VALU_DEP_2)
	v_add_f64 v[11:12], v[11:12], -v[25:26]
	v_add_f64 v[29:30], v[21:22], -v[23:24]
	;; [unrolled: 1-line block ×3, first 2 shown]
	s_delay_alu instid0(VALU_DEP_3) | instskip(NEXT) | instid1(VALU_DEP_3)
	v_add_f64 v[23:24], v[17:18], v[11:12]
	v_add_f64 v[13:14], v[13:14], -v[29:30]
	s_delay_alu instid0(VALU_DEP_1) | instskip(NEXT) | instid1(VALU_DEP_3)
	v_add_f64 v[13:14], v[19:20], v[13:14]
	v_add_f64 v[19:20], v[23:24], -v[17:18]
	s_delay_alu instid0(VALU_DEP_2) | instskip(NEXT) | instid1(VALU_DEP_2)
	v_add_f64 v[13:14], v[23:24], v[13:14]
	v_add_f64 v[23:24], v[23:24], -v[19:20]
	v_add_f64 v[11:12], v[11:12], -v[19:20]
	s_delay_alu instid0(VALU_DEP_3) | instskip(NEXT) | instid1(VALU_DEP_3)
	v_add_f64 v[25:26], v[21:22], v[13:14]
	v_add_f64 v[17:18], v[17:18], -v[23:24]
	s_delay_alu instid0(VALU_DEP_2) | instskip(NEXT) | instid1(VALU_DEP_2)
	v_add_f64 v[19:20], v[25:26], -v[21:22]
	v_add_f64 v[11:12], v[11:12], v[17:18]
	s_delay_alu instid0(VALU_DEP_2) | instskip(NEXT) | instid1(VALU_DEP_1)
	v_add_f64 v[13:14], v[13:14], -v[19:20]
	v_add_f64 v[11:12], v[11:12], v[13:14]
	s_delay_alu instid0(VALU_DEP_1) | instskip(NEXT) | instid1(VALU_DEP_1)
	v_add_f64 v[13:14], v[25:26], v[11:12]
	v_add_f64 v[17:18], v[13:14], -v[25:26]
	v_mul_f64 v[19:20], v[4:5], v[13:14]
	s_delay_alu instid0(VALU_DEP_2) | instskip(NEXT) | instid1(VALU_DEP_2)
	v_add_f64 v[11:12], v[11:12], -v[17:18]
	v_fma_f64 v[13:14], v[4:5], v[13:14], -v[19:20]
	v_cmp_class_f64_e64 s5, v[19:20], 0x204
	s_delay_alu instid0(VALU_DEP_2) | instskip(NEXT) | instid1(VALU_DEP_1)
	v_fma_f64 v[4:5], v[4:5], v[11:12], v[13:14]
	v_add_f64 v[11:12], v[19:20], v[4:5]
	s_delay_alu instid0(VALU_DEP_1) | instskip(NEXT) | instid1(VALU_DEP_2)
	v_cndmask_b32_e64 v14, v12, v20, s5
	v_cndmask_b32_e64 v13, v11, v19, s5
	v_add_f64 v[11:12], v[11:12], -v[19:20]
	s_delay_alu instid0(VALU_DEP_2)
	v_mul_f64 v[17:18], v[13:14], s[70:71]
	v_cmp_lt_f64_e64 s5, 0x40900000, v[13:14]
	v_cmp_neq_f64_e64 s6, 0x7ff00000, |v[13:14]|
	v_cmp_ngt_f64_e64 s7, 0xc090cc00, v[13:14]
	v_add_f64 v[4:5], v[4:5], -v[11:12]
	v_rndne_f64_e32 v[17:18], v[17:18]
	s_delay_alu instid0(VALU_DEP_2) | instskip(NEXT) | instid1(VALU_DEP_3)
	v_cndmask_b32_e64 v5, 0, v5, s6
	v_cndmask_b32_e64 v4, 0, v4, s6
	s_delay_alu instid0(VALU_DEP_3) | instskip(SKIP_3) | instid1(VALU_DEP_4)
	v_fma_f64 v[21:22], v[17:18], s[72:73], v[13:14]
	v_cvt_i32_f64_e32 v2, v[17:18]
	v_cndmask_b32_e64 v13, 0, v16, s4
	v_cndmask_b32_e64 v14, 0x3ff00000, v16, s4
	v_fma_f64 v[21:22], v[17:18], s[74:75], v[21:22]
	s_delay_alu instid0(VALU_DEP_1) | instskip(NEXT) | instid1(VALU_DEP_1)
	v_fma_f64 v[23:24], v[21:22], s[78:79], s[76:77]
	v_fma_f64 v[23:24], v[21:22], v[23:24], s[80:81]
	s_delay_alu instid0(VALU_DEP_1) | instskip(NEXT) | instid1(VALU_DEP_1)
	v_fma_f64 v[23:24], v[21:22], v[23:24], s[82:83]
	;; [unrolled: 3-line block ×5, first 2 shown]
	v_fma_f64 v[23:24], v[21:22], v[23:24], 1.0
	s_delay_alu instid0(VALU_DEP_1) | instskip(NEXT) | instid1(VALU_DEP_1)
	v_fma_f64 v[17:18], v[21:22], v[23:24], 1.0
	v_ldexp_f64 v[17:18], v[17:18], v2
	s_delay_alu instid0(VALU_DEP_1) | instskip(NEXT) | instid1(VALU_DEP_2)
	v_cndmask_b32_e64 v2, v17, 0, s5
	v_cndmask_b32_e64 v11, v18, 0x7ff00000, s5
	v_and_b32_e32 v18, 0x7fffffff, v18
	s_delay_alu instid0(VALU_DEP_2) | instskip(NEXT) | instid1(VALU_DEP_4)
	v_cndmask_b32_e64 v12, 0, v11, s7
	v_cndmask_b32_e64 v11, 0, v2, s7
	s_delay_alu instid0(VALU_DEP_3) | instskip(SKIP_2) | instid1(VALU_DEP_4)
	v_cmp_eq_f64_e64 s6, 0x7ff00000, v[17:18]
	v_cndmask_b32_e64 v2, 0, v3, s0
	v_cndmask_b32_e64 v3, 0x3ff00000, v3, s0
	v_fma_f64 v[4:5], v[11:12], v[4:5], v[11:12]
	s_delay_alu instid0(VALU_DEP_3) | instskip(NEXT) | instid1(VALU_DEP_3)
	v_bfi_b32 v9, 0x7fffffff, s98, v2
	v_bfi_b32 v3, 0x7fffffff, v7, v3
	v_bfi_b32 v7, 0x7fffffff, s99, v13
	v_cndmask_b32_e64 v2, v6, 0, vcc_lo
	s_delay_alu instid0(VALU_DEP_3) | instskip(NEXT) | instid1(VALU_DEP_1)
	v_cndmask_b32_e32 v3, v3, v9, vcc_lo
	v_add_f64 v[2:3], -v[2:3], 1.0
	s_or_b32 s0, s5, s6
	s_delay_alu instid0(SALU_CYCLE_1)
	s_and_b32 s0, s7, s0
	s_cmp_lg_u64 s[20:21], 0
	v_cndmask_b32_e64 v5, v5, v12, s0
	v_cndmask_b32_e64 v4, v4, v11, s0
	s_cselect_b32 s3, -1, 0
	s_lshl_b64 s[4:5], s[40:41], 2
	s_lshl_b64 s[6:7], s[40:41], 1
	v_bfi_b32 v5, 0x7fffffff, v5, v14
	v_cndmask_b32_e64 v4, v4, 0, s1
	s_delay_alu instid0(VALU_DEP_2) | instskip(SKIP_1) | instid1(VALU_DEP_2)
	v_cndmask_b32_e64 v5, v5, v7, s1
	v_cvt_f32_f64_e32 v2, v[2:3]
	v_add_f64 v[4:5], -v[4:5], 1.0
	s_delay_alu instid0(VALU_DEP_2) | instskip(SKIP_1) | instid1(VALU_DEP_3)
	v_cmp_gt_f32_e32 vcc_lo, 0xf800000, v2
	v_mul_f32_e32 v3, 0x4f800000, v2
	v_cvt_f32_f64_e32 v6, v[4:5]
	s_delay_alu instid0(VALU_DEP_2) | instskip(NEXT) | instid1(VALU_DEP_1)
	v_cndmask_b32_e32 v12, v2, v3, vcc_lo
	v_sqrt_f32_e32 v2, v12
	s_waitcnt_depctr 0xfff
	v_add_nc_u32_e32 v5, 1, v2
	v_add_nc_u32_e32 v4, -1, v2
	s_delay_alu instid0(VALU_DEP_2) | instskip(SKIP_2) | instid1(VALU_DEP_2)
	v_fma_f32 v9, -v5, v2, v12
	v_div_scale_f32 v7, null, v6, v6, s12
	v_div_scale_f32 v10, s0, s12, v6, s12
	v_rcp_f32_e32 v11, v7
	s_waitcnt_depctr 0xfff
	v_fma_f32 v3, -v7, v11, 1.0
	s_delay_alu instid0(VALU_DEP_1) | instskip(SKIP_1) | instid1(VALU_DEP_2)
	v_fmac_f32_e32 v11, v3, v11
	v_fma_f32 v3, -v4, v2, v12
	v_mul_f32_e32 v13, v10, v11
	s_delay_alu instid0(VALU_DEP_2) | instskip(NEXT) | instid1(VALU_DEP_1)
	v_cmp_ge_f32_e64 s1, 0, v3
	v_cndmask_b32_e64 v2, v2, v4, s1
	v_cmp_lt_f32_e64 s1, 0, v9
	s_delay_alu instid0(VALU_DEP_4) | instskip(SKIP_1) | instid1(VALU_DEP_3)
	v_fma_f32 v4, -v7, v13, v10
	v_mul_f32_e64 v9, s12, s15
	v_cndmask_b32_e64 v14, v2, v5, s1
	v_lshlrev_b64 v[2:3], 2, v[0:1]
	v_cmp_neq_f32_e64 s1, s15, 0
	s_delay_alu instid0(VALU_DEP_3) | instskip(NEXT) | instid1(VALU_DEP_1)
	v_mul_f32_e32 v15, 0x37800000, v14
	v_cndmask_b32_e32 v14, v14, v15, vcc_lo
	v_fmac_f32_e32 v13, v4, v11
	s_mov_b32 vcc_lo, s0
	v_lshlrev_b64 v[4:5], 1, v[0:1]
	s_delay_alu instid0(VALU_DEP_2) | instskip(SKIP_1) | instid1(VALU_DEP_2)
	v_fma_f32 v7, -v7, v13, v10
	v_sub_f32_e64 v10, 1.0, s14
	v_div_fmas_f32 v7, v7, v11, v13
	v_cmp_class_f32_e64 vcc_lo, v12, 0x260
	v_sub_f32_e64 v11, 1.0, s13
	s_delay_alu instid0(VALU_DEP_3)
	v_div_fixup_f32 v13, v7, v6, s12
	v_cndmask_b32_e32 v12, v14, v12, vcc_lo
	v_add_co_u32 v4, vcc_lo, s20, v4
	v_add_co_ci_u32_e32 v5, vcc_lo, s21, v5, vcc_lo
	s_branch .LBB1_23
.LBB1_22:                               ;   in Loop: Header=BB1_23 Depth=1
	s_add_u32 s22, s22, s4
	s_addc_u32 s23, s23, s5
	s_add_u32 s16, s16, s4
	s_addc_u32 s17, s17, s5
	s_add_u32 s24, s24, s4
	v_add_co_u32 v0, vcc_lo, v0, s40
	s_addc_u32 s25, s25, s5
	s_add_u32 s28, s28, s4
	v_add_co_ci_u32_e32 v1, vcc_lo, 0, v1, vcc_lo
	s_addc_u32 s29, s29, s5
	s_add_u32 s36, s36, s4
	s_addc_u32 s37, s37, s5
	s_add_u32 s38, s38, s4
	;; [unrolled: 2-line block ×3, first 2 shown]
	v_cmp_le_u64_e32 vcc_lo, s[10:11], v[0:1]
	s_addc_u32 s19, s19, s5
	v_add_co_u32 v4, s0, v4, s6
	s_add_u32 s26, s26, s4
	s_addc_u32 s27, s27, s5
	v_add_co_ci_u32_e64 v5, s0, s7, v5, s0
	s_add_u32 s30, s30, s4
	s_addc_u32 s31, s31, s5
	s_or_b32 s41, vcc_lo, s41
	s_delay_alu instid0(SALU_CYCLE_1)
	s_and_not1_b32 exec_lo, exec_lo, s41
	s_cbranch_execz .LBB1_34
.LBB1_23:                               ; =>This Inner Loop Header: Depth=1
	v_add_co_u32 v6, vcc_lo, s22, v2
	v_add_co_ci_u32_e32 v7, vcc_lo, s23, v3, vcc_lo
	global_load_b32 v19, v[6:7], off
	v_add_co_u32 v6, vcc_lo, s16, v2
	v_add_co_ci_u32_e32 v7, vcc_lo, s17, v3, vcc_lo
	v_add_co_u32 v15, vcc_lo, s24, v2
	v_add_co_ci_u32_e32 v16, vcc_lo, s25, v3, vcc_lo
	;; [unrolled: 2-line block ×3, first 2 shown]
	global_load_b32 v14, v[6:7], off
	global_load_b32 v6, v[15:16], off
	;; [unrolled: 1-line block ×3, first 2 shown]
	s_waitcnt vmcnt(3)
	v_div_scale_f32 v7, null, v8, v8, v19
	s_delay_alu instid0(VALU_DEP_1) | instskip(SKIP_2) | instid1(VALU_DEP_1)
	v_rcp_f32_e32 v15, v7
	s_waitcnt_depctr 0xfff
	v_fma_f32 v17, -v7, v15, 1.0
	v_fmac_f32_e32 v15, v17, v15
	v_div_scale_f32 v17, vcc_lo, v19, v8, v19
	s_delay_alu instid0(VALU_DEP_1) | instskip(NEXT) | instid1(VALU_DEP_1)
	v_mul_f32_e32 v18, v17, v15
	v_fma_f32 v20, -v7, v18, v17
	s_delay_alu instid0(VALU_DEP_1) | instskip(NEXT) | instid1(VALU_DEP_1)
	v_fmac_f32_e32 v18, v20, v15
	v_fma_f32 v7, -v7, v18, v17
	s_delay_alu instid0(VALU_DEP_1) | instskip(SKIP_1) | instid1(VALU_DEP_1)
	v_div_fmas_f32 v7, v7, v15, v18
	s_and_not1_b32 vcc_lo, exec_lo, s1
	v_div_fixup_f32 v7, v7, v8, v19
	s_delay_alu instid0(VALU_DEP_1) | instskip(NEXT) | instid1(VALU_DEP_1)
	v_cndmask_b32_e64 v7, v7, v19, s2
	v_cndmask_b32_e64 v7, v7, -v7, s35
	s_cbranch_vccnz .LBB1_29
; %bb.24:                               ;   in Loop: Header=BB1_23 Depth=1
	s_and_b32 vcc_lo, exec_lo, s97
	s_cbranch_vccz .LBB1_26
; %bb.25:                               ;   in Loop: Header=BB1_23 Depth=1
	s_waitcnt vmcnt(2)
	v_fma_f32 v15, s15, v14, v7
	s_cbranch_execz .LBB1_27
	s_branch .LBB1_28
.LBB1_26:                               ;   in Loop: Header=BB1_23 Depth=1
                                        ; implicit-def: $vgpr15
.LBB1_27:                               ;   in Loop: Header=BB1_23 Depth=1
	s_waitcnt vmcnt(2)
	v_fma_f32 v14, -v9, v14, v14
	v_mov_b32_e32 v15, v7
.LBB1_28:                               ;   in Loop: Header=BB1_23 Depth=1
	s_delay_alu instid0(VALU_DEP_1)
	v_mov_b32_e32 v7, v15
.LBB1_29:                               ;   in Loop: Header=BB1_23 Depth=1
	s_delay_alu instid0(VALU_DEP_1) | instskip(SKIP_1) | instid1(VALU_DEP_1)
	v_mul_f32_e32 v15, v7, v7
	s_and_not1_b32 vcc_lo, exec_lo, s33
	v_mul_f32_e32 v15, v10, v15
	s_waitcnt vmcnt(0)
	s_delay_alu instid0(VALU_DEP_1) | instskip(NEXT) | instid1(VALU_DEP_1)
	v_fmac_f32_e32 v15, s14, v16
	v_mov_b32_e32 v16, v15
	s_cbranch_vccnz .LBB1_31
; %bb.30:                               ;   in Loop: Header=BB1_23 Depth=1
	v_add_co_u32 v16, vcc_lo, s36, v2
	v_add_co_ci_u32_e32 v17, vcc_lo, s37, v3, vcc_lo
	global_load_b32 v16, v[16:17], off
	s_waitcnt vmcnt(0)
	v_dual_max_f32 v17, v15, v15 :: v_dual_max_f32 v16, v16, v16
	s_delay_alu instid0(VALU_DEP_1)
	v_max_f32_e32 v16, v16, v17
	v_add_co_u32 v17, vcc_lo, s38, v2
	v_add_co_ci_u32_e32 v18, vcc_lo, s39, v3, vcc_lo
	global_store_b32 v[17:18], v16, off
.LBB1_31:                               ;   in Loop: Header=BB1_23 Depth=1
	s_delay_alu instid0(VALU_DEP_1) | instskip(SKIP_1) | instid1(VALU_DEP_2)
	v_mul_f32_e32 v17, 0x4f800000, v16
	v_cmp_gt_f32_e32 vcc_lo, 0xf800000, v16
	v_cndmask_b32_e32 v16, v16, v17, vcc_lo
	s_delay_alu instid0(VALU_DEP_1) | instskip(SKIP_3) | instid1(VALU_DEP_2)
	v_sqrt_f32_e32 v17, v16
	s_waitcnt_depctr 0xfff
	v_add_nc_u32_e32 v18, -1, v17
	v_add_nc_u32_e32 v19, 1, v17
	v_fma_f32 v20, -v18, v17, v16
	s_delay_alu instid0(VALU_DEP_2) | instskip(NEXT) | instid1(VALU_DEP_2)
	v_fma_f32 v21, -v19, v17, v16
	v_cmp_ge_f32_e64 s0, 0, v20
	s_delay_alu instid0(VALU_DEP_1) | instskip(NEXT) | instid1(VALU_DEP_3)
	v_cndmask_b32_e64 v17, v17, v18, s0
	v_cmp_lt_f32_e64 s0, 0, v21
	s_delay_alu instid0(VALU_DEP_1) | instskip(NEXT) | instid1(VALU_DEP_1)
	v_cndmask_b32_e64 v17, v17, v19, s0
	v_mul_f32_e32 v18, 0x37800000, v17
	s_delay_alu instid0(VALU_DEP_1) | instskip(SKIP_1) | instid1(VALU_DEP_2)
	v_cndmask_b32_e32 v17, v17, v18, vcc_lo
	v_cmp_class_f32_e64 vcc_lo, v16, 0x260
	v_cndmask_b32_e32 v16, v17, v16, vcc_lo
	s_delay_alu instid0(VALU_DEP_1) | instskip(SKIP_1) | instid1(VALU_DEP_2)
	v_div_scale_f32 v17, null, v12, v12, v16
	v_div_scale_f32 v20, vcc_lo, v16, v12, v16
	v_rcp_f32_e32 v18, v17
	s_waitcnt_depctr 0xfff
	v_fma_f32 v19, -v17, v18, 1.0
	s_delay_alu instid0(VALU_DEP_1) | instskip(NEXT) | instid1(VALU_DEP_1)
	v_fmac_f32_e32 v18, v19, v18
	v_mul_f32_e32 v19, v20, v18
	s_delay_alu instid0(VALU_DEP_1) | instskip(NEXT) | instid1(VALU_DEP_1)
	v_fma_f32 v21, -v17, v19, v20
	v_fmac_f32_e32 v19, v21, v18
	s_delay_alu instid0(VALU_DEP_1) | instskip(SKIP_1) | instid1(VALU_DEP_2)
	v_fma_f32 v17, -v17, v19, v20
	v_mul_f32_e32 v20, v11, v7
	v_div_fmas_f32 v7, v17, v18, v19
	s_delay_alu instid0(VALU_DEP_2) | instskip(NEXT) | instid1(VALU_DEP_2)
	v_fmac_f32_e32 v20, s13, v6
	v_div_fixup_f32 v6, v7, v12, v16
	s_delay_alu instid0(VALU_DEP_1) | instskip(NEXT) | instid1(VALU_DEP_1)
	v_dual_mul_f32 v16, v13, v20 :: v_dual_add_f32 v17, s34, v6
	v_div_scale_f32 v6, null, v17, v17, v16
	v_div_scale_f32 v19, vcc_lo, v16, v17, v16
	s_delay_alu instid0(VALU_DEP_2) | instskip(SKIP_2) | instid1(VALU_DEP_1)
	v_rcp_f32_e32 v7, v6
	s_waitcnt_depctr 0xfff
	v_fma_f32 v18, -v6, v7, 1.0
	v_fmac_f32_e32 v7, v18, v7
	s_delay_alu instid0(VALU_DEP_1) | instskip(NEXT) | instid1(VALU_DEP_1)
	v_mul_f32_e32 v18, v19, v7
	v_fma_f32 v21, -v6, v18, v19
	s_delay_alu instid0(VALU_DEP_1) | instskip(NEXT) | instid1(VALU_DEP_1)
	v_fmac_f32_e32 v18, v21, v7
	v_fma_f32 v6, -v6, v18, v19
	s_delay_alu instid0(VALU_DEP_1) | instskip(SKIP_2) | instid1(VALU_DEP_3)
	v_div_fmas_f32 v18, v6, v7, v18
	v_add_co_u32 v6, vcc_lo, s18, v2
	v_add_co_ci_u32_e32 v7, vcc_lo, s19, v3, vcc_lo
	v_div_fixup_f32 v18, v18, v17, v16
	v_add_co_u32 v16, vcc_lo, s26, v2
	v_add_co_ci_u32_e32 v17, vcc_lo, s27, v3, vcc_lo
	s_delay_alu instid0(VALU_DEP_3)
	v_sub_f32_e32 v14, v14, v18
	v_add_co_u32 v18, vcc_lo, s30, v2
	v_add_co_ci_u32_e32 v19, vcc_lo, s31, v3, vcc_lo
	s_and_not1_b32 vcc_lo, exec_lo, s3
	global_store_b32 v[6:7], v14, off
	global_store_b32 v[16:17], v20, off
	;; [unrolled: 1-line block ×3, first 2 shown]
	s_cbranch_vccnz .LBB1_22
; %bb.32:                               ;   in Loop: Header=BB1_23 Depth=1
	global_load_b32 v6, v[6:7], off
	s_waitcnt vmcnt(0)
	v_cvt_f16_f32_e32 v6, v6
	global_store_b16 v[4:5], v6, off
	s_branch .LBB1_22
.LBB1_33:
	s_cbranch_execnz .LBB1_18
.LBB1_34:
	s_nop 0
	s_sendmsg sendmsg(MSG_DEALLOC_VGPRS)
	s_endpgm
	.section	.rodata,"a",@progbits
	.p2align	6, 0x0
	.amdhsa_kernel AmpAdamContiguousWithStep
		.amdhsa_group_segment_fixed_size 0
		.amdhsa_private_segment_fixed_size 0
		.amdhsa_kernarg_size 392
		.amdhsa_user_sgpr_count 15
		.amdhsa_user_sgpr_dispatch_ptr 0
		.amdhsa_user_sgpr_queue_ptr 0
		.amdhsa_user_sgpr_kernarg_segment_ptr 1
		.amdhsa_user_sgpr_dispatch_id 0
		.amdhsa_user_sgpr_private_segment_size 0
		.amdhsa_wavefront_size32 1
		.amdhsa_uses_dynamic_stack 0
		.amdhsa_enable_private_segment 0
		.amdhsa_system_sgpr_workgroup_id_x 1
		.amdhsa_system_sgpr_workgroup_id_y 0
		.amdhsa_system_sgpr_workgroup_id_z 0
		.amdhsa_system_sgpr_workgroup_info 0
		.amdhsa_system_vgpr_workitem_id 0
		.amdhsa_next_free_vgpr 33
		.amdhsa_next_free_sgpr 102
		.amdhsa_reserve_vcc 1
		.amdhsa_float_round_mode_32 0
		.amdhsa_float_round_mode_16_64 0
		.amdhsa_float_denorm_mode_32 3
		.amdhsa_float_denorm_mode_16_64 3
		.amdhsa_dx10_clamp 1
		.amdhsa_ieee_mode 1
		.amdhsa_fp16_overflow 0
		.amdhsa_workgroup_processor_mode 1
		.amdhsa_memory_ordered 1
		.amdhsa_forward_progress 0
		.amdhsa_shared_vgpr_count 0
		.amdhsa_exception_fp_ieee_invalid_op 0
		.amdhsa_exception_fp_denorm_src 0
		.amdhsa_exception_fp_ieee_div_zero 0
		.amdhsa_exception_fp_ieee_overflow 0
		.amdhsa_exception_fp_ieee_underflow 0
		.amdhsa_exception_fp_ieee_inexact 0
		.amdhsa_exception_int_div_zero 0
	.end_amdhsa_kernel
	.text
.Lfunc_end1:
	.size	AmpAdamContiguousWithStep, .Lfunc_end1-AmpAdamContiguousWithStep
                                        ; -- End function
	.section	.AMDGPU.csdata,"",@progbits
; Kernel info:
; codeLenInByte = 5952
; NumSgprs: 104
; NumVgprs: 33
; ScratchSize: 0
; MemoryBound: 0
; FloatMode: 240
; IeeeMode: 1
; LDSByteSize: 0 bytes/workgroup (compile time only)
; SGPRBlocks: 12
; VGPRBlocks: 4
; NumSGPRsForWavesPerEU: 104
; NumVGPRsForWavesPerEU: 33
; Occupancy: 16
; WaveLimiterHint : 0
; COMPUTE_PGM_RSRC2:SCRATCH_EN: 0
; COMPUTE_PGM_RSRC2:USER_SGPR: 15
; COMPUTE_PGM_RSRC2:TRAP_HANDLER: 0
; COMPUTE_PGM_RSRC2:TGID_X_EN: 1
; COMPUTE_PGM_RSRC2:TGID_Y_EN: 0
; COMPUTE_PGM_RSRC2:TGID_Z_EN: 0
; COMPUTE_PGM_RSRC2:TIDIG_COMP_CNT: 0
	.text
	.protected	AmpAdamContiguous       ; -- Begin function AmpAdamContiguous
	.globl	AmpAdamContiguous
	.p2align	8
	.type	AmpAdamContiguous,@function
AmpAdamContiguous:                      ; @AmpAdamContiguous
; %bb.0:
	s_clause 0x1
	s_load_b32 s4, s[0:1], 0x94
	s_load_b64 s[10:11], s[0:1], 0x80
	s_add_u32 s2, s0, 0x88
	s_addc_u32 s3, s1, 0
	s_waitcnt lgkmcnt(0)
	s_and_b32 s4, s4, 0xffff
	s_delay_alu instid0(SALU_CYCLE_1) | instskip(SKIP_2) | instid1(VALU_DEP_1)
	v_mad_u64_u32 v[1:2], null, s15, s4, v[0:1]
	v_mov_b32_e32 v2, 0
	s_mov_b32 s4, exec_lo
	v_cmpx_gt_u64_e64 s[10:11], v[1:2]
	s_cbranch_execz .LBB2_34
; %bb.1:
	s_clause 0x2
	s_load_b128 s[44:47], s[0:1], 0x70
	s_load_b256 s[36:43], s[0:1], 0x40
	s_load_b512 s[16:31], s[0:1], 0x0
	s_load_b32 s96, s[2:3], 0x0
	s_waitcnt lgkmcnt(0)
	s_bitcmp1_b32 s46, 0
	s_cselect_b32 s33, -1, 0
	s_cmp_eq_u64 s[42:43], 0
	s_cselect_b32 s4, -1, 0
	s_delay_alu instid0(SALU_CYCLE_1)
	s_and_b32 vcc_lo, exec_lo, s4
	s_cbranch_vccnz .LBB2_17
; %bb.2:
	v_mov_b32_e32 v2, 0
	global_load_u8 v1, v2, s[42:43]
	s_waitcnt vmcnt(0)
	v_cmp_ne_u16_e32 vcc_lo, 0, v1
	s_cbranch_vccz .LBB2_33
; %bb.3:
	s_cmp_lt_u32 s15, s96
	s_mov_b32 s14, exec_lo
	s_cselect_b32 s4, 12, 18
	s_delay_alu instid0(SALU_CYCLE_1)
	s_add_u32 s4, s2, s4
	s_addc_u32 s5, s3, 0
	global_load_u16 v5, v2, s[4:5]
	s_waitcnt vmcnt(0)
	v_mad_u64_u32 v[3:4], null, s15, v5, v[0:1]
	v_readfirstlane_b32 s4, v5
	s_delay_alu instid0(VALU_DEP_2) | instskip(NEXT) | instid1(VALU_DEP_1)
	v_mov_b32_e32 v1, v3
	v_cmpx_gt_u64_e64 s[10:11], v[1:2]
	s_cbranch_execz .LBB2_16
; %bb.4:
	s_cmp_lg_u64 s[16:17], s[18:19]
	v_lshlrev_b64 v[5:6], 1, v[1:2]
	s_cselect_b32 s56, -1, 0
	s_cmp_lg_u64 s[20:21], 0
	v_lshlrev_b64 v[3:4], 2, v[1:2]
	s_cselect_b32 s57, -1, 0
	s_cmp_lg_u64 s[24:25], s[26:27]
	v_add_co_u32 v5, vcc_lo, s20, v5
	s_cselect_b32 s58, -1, 0
	s_cmp_lg_u64 s[28:29], s[30:31]
	v_add_co_ci_u32_e32 v6, vcc_lo, s21, v6, vcc_lo
	s_cselect_b32 s59, -1, 0
	s_cmp_lg_u64 s[36:37], s[38:39]
	s_mul_i32 s4, s96, s4
	s_mov_b32 s5, 0
	s_cselect_b32 s12, -1, 0
	s_lshl_b64 s[6:7], s[4:5], 2
	s_lshl_b64 s[8:9], s[4:5], 1
	s_and_b32 s60, s12, s33
	s_mov_b64 s[12:13], s[38:39]
	s_mov_b64 s[34:35], s[36:37]
	;; [unrolled: 1-line block ×8, first 2 shown]
	s_branch .LBB2_6
.LBB2_5:                                ;   in Loop: Header=BB2_6 Depth=1
	s_add_u32 s54, s54, s6
	s_addc_u32 s55, s55, s7
	s_add_u32 s52, s52, s6
	v_add_co_u32 v1, vcc_lo, v1, s4
	s_addc_u32 s53, s53, s7
	s_add_u32 s50, s50, s6
	v_add_co_ci_u32_e32 v2, vcc_lo, 0, v2, vcc_lo
	s_addc_u32 s51, s51, s7
	s_add_u32 s48, s48, s6
	v_add_co_u32 v5, vcc_lo, v5, s8
	s_addc_u32 s49, s49, s7
	s_add_u32 s46, s46, s6
	v_add_co_ci_u32_e32 v6, vcc_lo, s9, v6, vcc_lo
	s_addc_u32 s47, s47, s7
	s_add_u32 s42, s42, s6
	v_cmp_le_u64_e32 vcc_lo, s[10:11], v[1:2]
	s_addc_u32 s43, s43, s7
	s_add_u32 s34, s34, s6
	s_addc_u32 s35, s35, s7
	s_add_u32 s12, s12, s6
	s_addc_u32 s13, s13, s7
	s_or_b32 s5, vcc_lo, s5
	s_delay_alu instid0(SALU_CYCLE_1)
	s_and_not1_b32 exec_lo, exec_lo, s5
	s_cbranch_execz .LBB2_16
.LBB2_6:                                ; =>This Inner Loop Header: Depth=1
	s_and_not1_b32 vcc_lo, exec_lo, s56
	s_cbranch_vccnz .LBB2_8
; %bb.7:                                ;   in Loop: Header=BB2_6 Depth=1
	v_add_co_u32 v7, vcc_lo, s54, v3
	v_add_co_ci_u32_e32 v8, vcc_lo, s55, v4, vcc_lo
	global_load_b32 v9, v[7:8], off
	v_add_co_u32 v7, vcc_lo, s52, v3
	v_add_co_ci_u32_e32 v8, vcc_lo, s53, v4, vcc_lo
	s_waitcnt vmcnt(0)
	global_store_b32 v[7:8], v9, off
.LBB2_8:                                ;   in Loop: Header=BB2_6 Depth=1
	s_and_not1_b32 vcc_lo, exec_lo, s57
	s_cbranch_vccnz .LBB2_10
; %bb.9:                                ;   in Loop: Header=BB2_6 Depth=1
	v_add_co_u32 v7, vcc_lo, s54, v3
	v_add_co_ci_u32_e32 v8, vcc_lo, s55, v4, vcc_lo
	global_load_b32 v7, v[7:8], off
	s_waitcnt vmcnt(0)
	v_cvt_f16_f32_e32 v7, v7
	global_store_b16 v[5:6], v7, off
.LBB2_10:                               ;   in Loop: Header=BB2_6 Depth=1
	s_and_not1_b32 vcc_lo, exec_lo, s58
	s_cbranch_vccnz .LBB2_12
; %bb.11:                               ;   in Loop: Header=BB2_6 Depth=1
	v_add_co_u32 v7, vcc_lo, s50, v3
	v_add_co_ci_u32_e32 v8, vcc_lo, s51, v4, vcc_lo
	global_load_b32 v9, v[7:8], off
	v_add_co_u32 v7, vcc_lo, s48, v3
	v_add_co_ci_u32_e32 v8, vcc_lo, s49, v4, vcc_lo
	s_waitcnt vmcnt(0)
	global_store_b32 v[7:8], v9, off
.LBB2_12:                               ;   in Loop: Header=BB2_6 Depth=1
	s_and_not1_b32 vcc_lo, exec_lo, s59
	s_cbranch_vccnz .LBB2_14
; %bb.13:                               ;   in Loop: Header=BB2_6 Depth=1
	v_add_co_u32 v7, vcc_lo, s46, v3
	v_add_co_ci_u32_e32 v8, vcc_lo, s47, v4, vcc_lo
	global_load_b32 v9, v[7:8], off
	v_add_co_u32 v7, vcc_lo, s42, v3
	v_add_co_ci_u32_e32 v8, vcc_lo, s43, v4, vcc_lo
	s_waitcnt vmcnt(0)
	global_store_b32 v[7:8], v9, off
.LBB2_14:                               ;   in Loop: Header=BB2_6 Depth=1
	s_and_not1_b32 vcc_lo, exec_lo, s60
	s_cbranch_vccnz .LBB2_5
; %bb.15:                               ;   in Loop: Header=BB2_6 Depth=1
	v_add_co_u32 v7, vcc_lo, s34, v3
	v_add_co_ci_u32_e32 v8, vcc_lo, s35, v4, vcc_lo
	global_load_b32 v9, v[7:8], off
	v_add_co_u32 v7, vcc_lo, s12, v3
	v_add_co_ci_u32_e32 v8, vcc_lo, s13, v4, vcc_lo
	s_waitcnt vmcnt(0)
	global_store_b32 v[7:8], v9, off
	s_branch .LBB2_5
.LBB2_16:
	s_or_b32 exec_lo, exec_lo, s14
	s_mov_b32 s4, 0
.LBB2_17:
	s_delay_alu instid0(SALU_CYCLE_1)
	s_and_b32 vcc_lo, exec_lo, s4
	s_cbranch_vccz .LBB2_34
.LBB2_18:
	s_cmp_lt_u32 s15, s96
	v_dual_mov_b32 v1, 0 :: v_dual_mov_b32 v8, 1.0
	s_cselect_b32 s4, 12, 18
	s_delay_alu instid0(SALU_CYCLE_1) | instskip(SKIP_4) | instid1(SALU_CYCLE_1)
	s_add_u32 s2, s2, s4
	s_addc_u32 s3, s3, 0
	s_cmp_eq_u64 s[40:41], 0
	global_load_u16 v2, v1, s[2:3]
	s_cselect_b32 s2, -1, 0
	s_and_b32 vcc_lo, exec_lo, s2
	s_waitcnt vmcnt(0)
	v_readfirstlane_b32 s3, v2
	s_cbranch_vccnz .LBB2_20
; %bb.19:
	s_load_b32 s4, s[40:41], 0x0
	s_waitcnt lgkmcnt(0)
	v_cvt_f32_i32_e32 v8, s4
.LBB2_20:
	s_delay_alu instid0(VALU_DEP_1) | instskip(NEXT) | instid1(SALU_CYCLE_1)
	s_and_b32 s34, 0xffff, s3
	v_mad_u64_u32 v[2:3], null, s15, s34, v[0:1]
	s_delay_alu instid0(VALU_DEP_1) | instskip(NEXT) | instid1(VALU_DEP_1)
	v_mov_b32_e32 v0, v2
	v_cmp_gt_u64_e32 vcc_lo, s[10:11], v[0:1]
	s_and_b32 exec_lo, exec_lo, vcc_lo
	s_cbranch_execz .LBB2_34
; %bb.21:
	s_clause 0x1
	s_load_b128 s[12:15], s[0:1], 0x60
	s_load_b32 s5, s[0:1], 0x78
	s_mov_b32 s40, 0x55555555
	s_mov_b32 s41, 0x3fe55555
	;; [unrolled: 1-line block ×18, first 2 shown]
	s_waitcnt lgkmcnt(0)
	v_cvt_f64_u32_e32 v[4:5], s12
	v_cmp_neq_f32_e64 vcc_lo, s15, 1.0
	v_cvt_f64_f32_e32 v[2:3], s15
	s_bitcmp1_b32 s5, 8
	s_mov_b32 s58, 0x924920da
	s_cselect_b32 s12, -1, 0
	s_bitcmp1_b32 s5, 16
	s_mov_b32 s59, 0x3fd24924
	s_cselect_b32 s5, -1, 0
	s_mov_b32 s60, 0x9999999c
	s_xor_b32 s97, s5, -1
	s_mov_b32 s61, 0x3fd99999
	s_mov_b32 s65, 0xbfe55555
	;; [unrolled: 1-line block ×27, first 2 shown]
	v_cndmask_b32_e32 v7, 0x3ff00000, v5, vcc_lo
	v_cndmask_b32_e32 v6, 0, v4, vcc_lo
	s_mov_b32 s88, 0x11122322
	s_mov_b32 s89, 0x3f811111
	;; [unrolled: 1-line block ×4, first 2 shown]
	v_cmp_neq_f64_e32 vcc_lo, 0, v[6:7]
	v_mul_f64 v[9:10], v[6:7], 0.5
	v_trunc_f64_e32 v[11:12], v[6:7]
	s_mov_b32 s92, 0x55555511
	s_mov_b32 s93, 0x3fc55555
	;; [unrolled: 1-line block ×5, first 2 shown]
	s_mul_i32 s34, s96, s34
	v_cndmask_b32_e32 v3, 0x3ff00000, v3, vcc_lo
	v_cndmask_b32_e32 v2, 0, v2, vcc_lo
	s_delay_alu instid0(VALU_DEP_4) | instskip(NEXT) | instid1(VALU_DEP_4)
	v_trunc_f64_e32 v[13:14], v[9:10]
	v_cmp_eq_f64_e64 s1, v[11:12], v[6:7]
	s_delay_alu instid0(VALU_DEP_3)
	v_frexp_mant_f64_e64 v[15:16], |v[2:3]|
	v_cmp_class_f64_e64 s7, v[2:3], 0x204
	v_cmp_eq_f64_e64 s0, 0, v[2:3]
	v_frexp_exp_i32_f64_e32 v2, v[2:3]
	v_cmp_neq_f64_e64 s3, v[13:14], v[9:10]
	v_cmp_gt_f64_e64 s4, s[40:41], v[15:16]
	s_delay_alu instid0(VALU_DEP_4) | instskip(SKIP_2) | instid1(VALU_DEP_2)
	s_or_b32 vcc_lo, s7, s0
	s_and_b32 s0, s0, exec_lo
	s_cselect_b32 s98, 0, 0x7ff00000
	s_and_b32 s0, s1, s3
	s_delay_alu instid0(VALU_DEP_1) | instskip(SKIP_1) | instid1(VALU_DEP_3)
	s_and_b32 s1, s4, exec_lo
	s_cselect_b32 s7, 2.0, 0x3ff00000
	v_subrev_co_ci_u32_e64 v2, s5, 0, v2, s4
	v_mul_f64 v[9:10], v[15:16], s[6:7]
	s_delay_alu instid0(VALU_DEP_1) | instskip(SKIP_1) | instid1(VALU_DEP_2)
	v_add_f64 v[11:12], v[9:10], 1.0
	v_add_f64 v[17:18], v[9:10], -1.0
	v_rcp_f64_e32 v[13:14], v[11:12]
	v_add_f64 v[19:20], v[11:12], -1.0
	s_delay_alu instid0(VALU_DEP_1) | instskip(SKIP_2) | instid1(VALU_DEP_1)
	v_add_f64 v[9:10], v[9:10], -v[19:20]
	s_waitcnt_depctr 0xfff
	v_fma_f64 v[15:16], -v[11:12], v[13:14], 1.0
	v_fma_f64 v[13:14], v[15:16], v[13:14], v[13:14]
	s_delay_alu instid0(VALU_DEP_1) | instskip(NEXT) | instid1(VALU_DEP_1)
	v_fma_f64 v[15:16], -v[11:12], v[13:14], 1.0
	v_fma_f64 v[13:14], v[15:16], v[13:14], v[13:14]
	s_delay_alu instid0(VALU_DEP_1) | instskip(NEXT) | instid1(VALU_DEP_1)
	v_mul_f64 v[15:16], v[17:18], v[13:14]
	v_mul_f64 v[21:22], v[11:12], v[15:16]
	s_delay_alu instid0(VALU_DEP_1) | instskip(NEXT) | instid1(VALU_DEP_1)
	v_fma_f64 v[11:12], v[15:16], v[11:12], -v[21:22]
	v_fma_f64 v[9:10], v[15:16], v[9:10], v[11:12]
	s_delay_alu instid0(VALU_DEP_1) | instskip(NEXT) | instid1(VALU_DEP_1)
	v_add_f64 v[11:12], v[21:22], v[9:10]
	v_add_f64 v[19:20], v[17:18], -v[11:12]
	v_add_f64 v[21:22], v[11:12], -v[21:22]
	s_delay_alu instid0(VALU_DEP_2) | instskip(NEXT) | instid1(VALU_DEP_2)
	v_add_f64 v[17:18], v[17:18], -v[19:20]
	v_add_f64 v[9:10], v[21:22], -v[9:10]
	s_delay_alu instid0(VALU_DEP_2) | instskip(NEXT) | instid1(VALU_DEP_1)
	v_add_f64 v[11:12], v[17:18], -v[11:12]
	v_add_f64 v[9:10], v[9:10], v[11:12]
	s_delay_alu instid0(VALU_DEP_1) | instskip(NEXT) | instid1(VALU_DEP_1)
	v_add_f64 v[9:10], v[19:20], v[9:10]
	v_mul_f64 v[9:10], v[13:14], v[9:10]
	s_delay_alu instid0(VALU_DEP_1) | instskip(NEXT) | instid1(VALU_DEP_1)
	v_add_f64 v[11:12], v[15:16], v[9:10]
	v_add_f64 v[13:14], v[11:12], -v[15:16]
	v_mul_f64 v[15:16], v[11:12], v[11:12]
	s_delay_alu instid0(VALU_DEP_2) | instskip(NEXT) | instid1(VALU_DEP_2)
	v_add_f64 v[9:10], v[9:10], -v[13:14]
	v_fma_f64 v[13:14], v[11:12], v[11:12], -v[15:16]
	s_delay_alu instid0(VALU_DEP_2) | instskip(NEXT) | instid1(VALU_DEP_1)
	v_add_f64 v[17:18], v[9:10], v[9:10]
	v_fma_f64 v[13:14], v[11:12], v[17:18], v[13:14]
	s_delay_alu instid0(VALU_DEP_1) | instskip(NEXT) | instid1(VALU_DEP_1)
	v_add_f64 v[17:18], v[15:16], v[13:14]
	v_fma_f64 v[19:20], v[17:18], s[46:47], s[42:43]
	v_add_f64 v[15:16], v[17:18], -v[15:16]
	v_mul_f64 v[25:26], v[11:12], v[17:18]
	s_delay_alu instid0(VALU_DEP_3) | instskip(NEXT) | instid1(VALU_DEP_3)
	v_fma_f64 v[19:20], v[17:18], v[19:20], s[48:49]
	v_add_f64 v[13:14], v[13:14], -v[15:16]
	s_delay_alu instid0(VALU_DEP_3) | instskip(NEXT) | instid1(VALU_DEP_3)
	v_fma_f64 v[27:28], v[17:18], v[11:12], -v[25:26]
	v_fma_f64 v[19:20], v[17:18], v[19:20], s[50:51]
	s_delay_alu instid0(VALU_DEP_1) | instskip(NEXT) | instid1(VALU_DEP_1)
	v_fma_f64 v[19:20], v[17:18], v[19:20], s[52:53]
	v_fma_f64 v[19:20], v[17:18], v[19:20], s[54:55]
	s_delay_alu instid0(VALU_DEP_1) | instskip(NEXT) | instid1(VALU_DEP_1)
	v_fma_f64 v[19:20], v[17:18], v[19:20], s[56:57]
	;; [unrolled: 3-line block ×3, first 2 shown]
	v_mul_f64 v[21:22], v[17:18], v[19:20]
	s_delay_alu instid0(VALU_DEP_1) | instskip(SKIP_2) | instid1(VALU_DEP_3)
	v_fma_f64 v[15:16], v[17:18], v[19:20], -v[21:22]
	v_fma_f64 v[17:18], v[17:18], v[9:10], v[27:28]
	v_ldexp_f64 v[9:10], v[9:10], 1
	v_fma_f64 v[15:16], v[13:14], v[19:20], v[15:16]
	s_delay_alu instid0(VALU_DEP_3) | instskip(SKIP_1) | instid1(VALU_DEP_3)
	v_fma_f64 v[13:14], v[13:14], v[11:12], v[17:18]
	v_ldexp_f64 v[11:12], v[11:12], 1
	v_add_f64 v[19:20], v[21:22], v[15:16]
	s_delay_alu instid0(VALU_DEP_1) | instskip(SKIP_1) | instid1(VALU_DEP_2)
	v_add_f64 v[21:22], v[19:20], -v[21:22]
	v_add_f64 v[23:24], v[19:20], s[40:41]
	v_add_f64 v[15:16], v[15:16], -v[21:22]
	s_delay_alu instid0(VALU_DEP_2) | instskip(NEXT) | instid1(VALU_DEP_2)
	v_add_f64 v[21:22], v[23:24], s[64:65]
	v_add_f64 v[15:16], v[15:16], s[66:67]
	s_delay_alu instid0(VALU_DEP_2) | instskip(NEXT) | instid1(VALU_DEP_1)
	v_add_f64 v[19:20], v[19:20], -v[21:22]
	v_add_f64 v[15:16], v[15:16], v[19:20]
	v_add_f64 v[19:20], v[25:26], v[13:14]
	s_delay_alu instid0(VALU_DEP_2) | instskip(NEXT) | instid1(VALU_DEP_2)
	v_add_f64 v[17:18], v[23:24], v[15:16]
	v_add_f64 v[25:26], v[19:20], -v[25:26]
	s_delay_alu instid0(VALU_DEP_2) | instskip(SKIP_1) | instid1(VALU_DEP_3)
	v_add_f64 v[21:22], v[23:24], -v[17:18]
	v_mul_f64 v[23:24], v[19:20], v[17:18]
	v_add_f64 v[13:14], v[13:14], -v[25:26]
	s_delay_alu instid0(VALU_DEP_3) | instskip(NEXT) | instid1(VALU_DEP_3)
	v_add_f64 v[15:16], v[15:16], v[21:22]
	v_fma_f64 v[21:22], v[19:20], v[17:18], -v[23:24]
	s_delay_alu instid0(VALU_DEP_1) | instskip(NEXT) | instid1(VALU_DEP_1)
	v_fma_f64 v[15:16], v[19:20], v[15:16], v[21:22]
	v_fma_f64 v[13:14], v[13:14], v[17:18], v[15:16]
	v_cvt_f64_i32_e32 v[17:18], v2
	s_delay_alu instid0(VALU_DEP_2) | instskip(NEXT) | instid1(VALU_DEP_1)
	v_add_f64 v[15:16], v[23:24], v[13:14]
	v_add_f64 v[19:20], v[15:16], -v[23:24]
	v_add_f64 v[21:22], v[11:12], v[15:16]
	s_delay_alu instid0(VALU_DEP_4) | instskip(NEXT) | instid1(VALU_DEP_3)
	v_mul_f64 v[23:24], v[17:18], s[62:63]
	v_add_f64 v[13:14], v[13:14], -v[19:20]
	s_delay_alu instid0(VALU_DEP_3) | instskip(NEXT) | instid1(VALU_DEP_3)
	v_add_f64 v[11:12], v[21:22], -v[11:12]
	v_fma_f64 v[19:20], v[17:18], s[62:63], -v[23:24]
	s_delay_alu instid0(VALU_DEP_3) | instskip(NEXT) | instid1(VALU_DEP_3)
	v_add_f64 v[9:10], v[9:10], v[13:14]
	v_add_f64 v[11:12], v[15:16], -v[11:12]
	s_delay_alu instid0(VALU_DEP_3) | instskip(NEXT) | instid1(VALU_DEP_2)
	v_fma_f64 v[13:14], v[17:18], s[68:69], v[19:20]
	v_add_f64 v[9:10], v[9:10], v[11:12]
	s_delay_alu instid0(VALU_DEP_2) | instskip(NEXT) | instid1(VALU_DEP_2)
	v_add_f64 v[11:12], v[23:24], v[13:14]
	v_add_f64 v[15:16], v[21:22], v[9:10]
	s_delay_alu instid0(VALU_DEP_2) | instskip(NEXT) | instid1(VALU_DEP_2)
	v_add_f64 v[23:24], v[11:12], -v[23:24]
	v_add_f64 v[17:18], v[11:12], v[15:16]
	v_add_f64 v[21:22], v[15:16], -v[21:22]
	s_delay_alu instid0(VALU_DEP_3) | instskip(NEXT) | instid1(VALU_DEP_3)
	v_add_f64 v[13:14], v[13:14], -v[23:24]
	v_add_f64 v[19:20], v[17:18], -v[11:12]
	s_delay_alu instid0(VALU_DEP_3) | instskip(NEXT) | instid1(VALU_DEP_2)
	v_add_f64 v[9:10], v[9:10], -v[21:22]
	v_add_f64 v[25:26], v[17:18], -v[19:20]
	;; [unrolled: 1-line block ×3, first 2 shown]
	s_delay_alu instid0(VALU_DEP_3) | instskip(NEXT) | instid1(VALU_DEP_3)
	v_add_f64 v[19:20], v[13:14], v[9:10]
	v_add_f64 v[11:12], v[11:12], -v[25:26]
	s_delay_alu instid0(VALU_DEP_1) | instskip(NEXT) | instid1(VALU_DEP_3)
	v_add_f64 v[11:12], v[15:16], v[11:12]
	v_add_f64 v[15:16], v[19:20], -v[13:14]
	s_delay_alu instid0(VALU_DEP_2) | instskip(NEXT) | instid1(VALU_DEP_2)
	v_add_f64 v[11:12], v[19:20], v[11:12]
	v_add_f64 v[19:20], v[19:20], -v[15:16]
	v_add_f64 v[9:10], v[9:10], -v[15:16]
	s_delay_alu instid0(VALU_DEP_3) | instskip(NEXT) | instid1(VALU_DEP_3)
	v_add_f64 v[21:22], v[17:18], v[11:12]
	v_add_f64 v[13:14], v[13:14], -v[19:20]
	s_delay_alu instid0(VALU_DEP_2) | instskip(NEXT) | instid1(VALU_DEP_2)
	v_add_f64 v[15:16], v[21:22], -v[17:18]
	v_add_f64 v[9:10], v[9:10], v[13:14]
	s_delay_alu instid0(VALU_DEP_2) | instskip(NEXT) | instid1(VALU_DEP_1)
	v_add_f64 v[11:12], v[11:12], -v[15:16]
	v_add_f64 v[9:10], v[9:10], v[11:12]
	s_delay_alu instid0(VALU_DEP_1) | instskip(NEXT) | instid1(VALU_DEP_1)
	v_add_f64 v[11:12], v[21:22], v[9:10]
	v_add_f64 v[13:14], v[11:12], -v[21:22]
	v_mul_f64 v[15:16], v[6:7], v[11:12]
	s_delay_alu instid0(VALU_DEP_2) | instskip(NEXT) | instid1(VALU_DEP_2)
	v_add_f64 v[9:10], v[9:10], -v[13:14]
	v_fma_f64 v[11:12], v[6:7], v[11:12], -v[15:16]
	v_cmp_class_f64_e64 s1, v[15:16], 0x204
	s_delay_alu instid0(VALU_DEP_2) | instskip(NEXT) | instid1(VALU_DEP_1)
	v_fma_f64 v[6:7], v[6:7], v[9:10], v[11:12]
	v_add_f64 v[9:10], v[15:16], v[6:7]
	s_delay_alu instid0(VALU_DEP_1) | instskip(NEXT) | instid1(VALU_DEP_2)
	v_cndmask_b32_e64 v12, v10, v16, s1
	v_cndmask_b32_e64 v11, v9, v15, s1
	v_cmp_neq_f32_e64 s1, s14, 1.0
	v_add_f64 v[9:10], v[9:10], -v[15:16]
	s_delay_alu instid0(VALU_DEP_3) | instskip(NEXT) | instid1(VALU_DEP_3)
	v_mul_f64 v[13:14], v[11:12], s[70:71]
	v_cndmask_b32_e64 v5, 0x3ff00000, v5, s1
	v_cndmask_b32_e64 v4, 0, v4, s1
	v_cmp_lt_f64_e64 s3, 0x40900000, v[11:12]
	v_cmp_ngt_f64_e64 s4, 0xc090cc00, v[11:12]
	s_delay_alu instid0(VALU_DEP_3) | instskip(SKIP_2) | instid1(VALU_DEP_1)
	v_cmp_neq_f64_e64 s1, 0, v[4:5]
	v_add_f64 v[6:7], v[6:7], -v[9:10]
	v_rndne_f64_e32 v[13:14], v[13:14]
	v_fma_f64 v[17:18], v[13:14], s[72:73], v[11:12]
	v_cvt_i32_f64_e32 v2, v[13:14]
	s_delay_alu instid0(VALU_DEP_2) | instskip(NEXT) | instid1(VALU_DEP_1)
	v_fma_f64 v[17:18], v[13:14], s[74:75], v[17:18]
	v_fma_f64 v[19:20], v[17:18], s[78:79], s[76:77]
	s_delay_alu instid0(VALU_DEP_1) | instskip(NEXT) | instid1(VALU_DEP_1)
	v_fma_f64 v[19:20], v[17:18], v[19:20], s[80:81]
	v_fma_f64 v[19:20], v[17:18], v[19:20], s[82:83]
	s_delay_alu instid0(VALU_DEP_1) | instskip(NEXT) | instid1(VALU_DEP_1)
	;; [unrolled: 3-line block ×5, first 2 shown]
	v_fma_f64 v[19:20], v[17:18], v[19:20], 1.0
	v_fma_f64 v[13:14], v[17:18], v[19:20], 1.0
	v_cvt_f64_f32_e32 v[17:18], s14
	v_mul_f64 v[19:20], v[4:5], 0.5
	s_delay_alu instid0(VALU_DEP_3) | instskip(NEXT) | instid1(VALU_DEP_3)
	v_ldexp_f64 v[13:14], v[13:14], v2
	v_cndmask_b32_e64 v16, 0x3ff00000, v18, s1
	s_delay_alu instid0(VALU_DEP_4) | instskip(SKIP_3) | instid1(VALU_DEP_4)
	v_cndmask_b32_e64 v15, 0, v17, s1
	v_trunc_f64_e32 v[17:18], v[4:5]
	v_trunc_f64_e32 v[21:22], v[19:20]
	v_cmp_neq_f64_e64 s1, 0x7ff00000, |v[11:12]|
	v_frexp_mant_f64_e64 v[23:24], |v[15:16]|
	v_frexp_exp_i32_f64_e32 v11, v[15:16]
	v_cmp_class_f64_e64 s99, v[15:16], 0x204
	v_cmp_eq_f64_e64 s5, 0, v[15:16]
	v_dual_mov_b32 v9, v13 :: v_dual_and_b32 v10, 0x7fffffff, v14
	v_cndmask_b32_e64 v2, v13, 0, s3
	v_cmp_eq_f64_e64 s7, v[17:18], v[4:5]
	v_cmp_neq_f64_e64 s8, v[21:22], v[19:20]
	v_cndmask_b32_e64 v13, v14, 0x7ff00000, s3
	v_cmp_eq_f64_e64 s6, 0x7ff00000, v[9:10]
	v_cmp_gt_f64_e64 s9, s[40:41], v[23:24]
	v_cndmask_b32_e64 v7, 0, v7, s1
	v_cndmask_b32_e64 v6, 0, v6, s1
	;; [unrolled: 1-line block ×4, first 2 shown]
	s_delay_alu instid0(VALU_DEP_1)
	v_fma_f64 v[6:7], v[9:10], v[6:7], v[9:10]
	s_or_b32 s3, s3, s6
	v_subrev_co_ci_u32_e64 v2, s1, 0, v11, s9
	s_or_b32 s1, s99, s5
	s_and_b32 s3, s4, s3
	s_and_b32 s4, s5, exec_lo
	s_cselect_b32 s99, 0, 0x7ff00000
	s_and_b32 s4, s7, s8
	s_and_b32 s5, s9, exec_lo
	s_cselect_b32 s101, 2.0, 0x3ff00000
	s_delay_alu instid0(VALU_DEP_2) | instskip(SKIP_1) | instid1(VALU_DEP_4)
	v_cndmask_b32_e64 v7, v7, v10, s3
	v_mul_f64 v[11:12], v[23:24], s[100:101]
	v_cndmask_b32_e64 v6, v6, v9, s3
	s_delay_alu instid0(VALU_DEP_2) | instskip(SKIP_1) | instid1(VALU_DEP_2)
	v_add_f64 v[13:14], v[11:12], 1.0
	v_add_f64 v[21:22], v[11:12], -1.0
	v_rcp_f64_e32 v[17:18], v[13:14]
	v_add_f64 v[23:24], v[13:14], -1.0
	s_delay_alu instid0(VALU_DEP_1) | instskip(SKIP_2) | instid1(VALU_DEP_1)
	v_add_f64 v[11:12], v[11:12], -v[23:24]
	s_waitcnt_depctr 0xfff
	v_fma_f64 v[19:20], -v[13:14], v[17:18], 1.0
	v_fma_f64 v[17:18], v[19:20], v[17:18], v[17:18]
	s_delay_alu instid0(VALU_DEP_1) | instskip(NEXT) | instid1(VALU_DEP_1)
	v_fma_f64 v[19:20], -v[13:14], v[17:18], 1.0
	v_fma_f64 v[17:18], v[19:20], v[17:18], v[17:18]
	s_delay_alu instid0(VALU_DEP_1) | instskip(NEXT) | instid1(VALU_DEP_1)
	v_mul_f64 v[19:20], v[21:22], v[17:18]
	v_mul_f64 v[25:26], v[13:14], v[19:20]
	s_delay_alu instid0(VALU_DEP_1) | instskip(NEXT) | instid1(VALU_DEP_1)
	v_fma_f64 v[13:14], v[19:20], v[13:14], -v[25:26]
	v_fma_f64 v[11:12], v[19:20], v[11:12], v[13:14]
	s_delay_alu instid0(VALU_DEP_1) | instskip(NEXT) | instid1(VALU_DEP_1)
	v_add_f64 v[13:14], v[25:26], v[11:12]
	v_add_f64 v[23:24], v[21:22], -v[13:14]
	v_add_f64 v[25:26], v[13:14], -v[25:26]
	s_delay_alu instid0(VALU_DEP_2) | instskip(NEXT) | instid1(VALU_DEP_2)
	v_add_f64 v[21:22], v[21:22], -v[23:24]
	v_add_f64 v[11:12], v[25:26], -v[11:12]
	s_delay_alu instid0(VALU_DEP_2) | instskip(NEXT) | instid1(VALU_DEP_1)
	v_add_f64 v[13:14], v[21:22], -v[13:14]
	v_add_f64 v[11:12], v[11:12], v[13:14]
	s_delay_alu instid0(VALU_DEP_1) | instskip(NEXT) | instid1(VALU_DEP_1)
	v_add_f64 v[11:12], v[23:24], v[11:12]
	v_mul_f64 v[11:12], v[17:18], v[11:12]
	s_delay_alu instid0(VALU_DEP_1) | instskip(NEXT) | instid1(VALU_DEP_1)
	v_add_f64 v[13:14], v[19:20], v[11:12]
	v_add_f64 v[17:18], v[13:14], -v[19:20]
	v_mul_f64 v[19:20], v[13:14], v[13:14]
	s_delay_alu instid0(VALU_DEP_2) | instskip(NEXT) | instid1(VALU_DEP_2)
	v_add_f64 v[11:12], v[11:12], -v[17:18]
	v_fma_f64 v[17:18], v[13:14], v[13:14], -v[19:20]
	s_delay_alu instid0(VALU_DEP_2) | instskip(NEXT) | instid1(VALU_DEP_1)
	v_add_f64 v[21:22], v[11:12], v[11:12]
	v_fma_f64 v[17:18], v[13:14], v[21:22], v[17:18]
	s_delay_alu instid0(VALU_DEP_1) | instskip(NEXT) | instid1(VALU_DEP_1)
	v_add_f64 v[21:22], v[19:20], v[17:18]
	v_fma_f64 v[23:24], v[21:22], s[46:47], s[42:43]
	v_add_f64 v[19:20], v[21:22], -v[19:20]
	v_mul_f64 v[29:30], v[13:14], v[21:22]
	s_delay_alu instid0(VALU_DEP_3) | instskip(NEXT) | instid1(VALU_DEP_3)
	v_fma_f64 v[23:24], v[21:22], v[23:24], s[48:49]
	v_add_f64 v[17:18], v[17:18], -v[19:20]
	s_delay_alu instid0(VALU_DEP_3) | instskip(NEXT) | instid1(VALU_DEP_3)
	v_fma_f64 v[31:32], v[21:22], v[13:14], -v[29:30]
	v_fma_f64 v[23:24], v[21:22], v[23:24], s[50:51]
	s_delay_alu instid0(VALU_DEP_1) | instskip(NEXT) | instid1(VALU_DEP_1)
	v_fma_f64 v[23:24], v[21:22], v[23:24], s[52:53]
	v_fma_f64 v[23:24], v[21:22], v[23:24], s[54:55]
	s_delay_alu instid0(VALU_DEP_1) | instskip(NEXT) | instid1(VALU_DEP_1)
	v_fma_f64 v[23:24], v[21:22], v[23:24], s[56:57]
	;; [unrolled: 3-line block ×3, first 2 shown]
	v_mul_f64 v[25:26], v[21:22], v[23:24]
	s_delay_alu instid0(VALU_DEP_1) | instskip(SKIP_2) | instid1(VALU_DEP_3)
	v_fma_f64 v[19:20], v[21:22], v[23:24], -v[25:26]
	v_fma_f64 v[21:22], v[21:22], v[11:12], v[31:32]
	v_ldexp_f64 v[11:12], v[11:12], 1
	v_fma_f64 v[19:20], v[17:18], v[23:24], v[19:20]
	s_delay_alu instid0(VALU_DEP_3) | instskip(SKIP_1) | instid1(VALU_DEP_3)
	v_fma_f64 v[17:18], v[17:18], v[13:14], v[21:22]
	v_ldexp_f64 v[13:14], v[13:14], 1
	v_add_f64 v[23:24], v[25:26], v[19:20]
	s_delay_alu instid0(VALU_DEP_1) | instskip(SKIP_1) | instid1(VALU_DEP_2)
	v_add_f64 v[25:26], v[23:24], -v[25:26]
	v_add_f64 v[27:28], v[23:24], s[40:41]
	v_add_f64 v[19:20], v[19:20], -v[25:26]
	s_delay_alu instid0(VALU_DEP_2) | instskip(NEXT) | instid1(VALU_DEP_2)
	v_add_f64 v[25:26], v[27:28], s[64:65]
	v_add_f64 v[19:20], v[19:20], s[66:67]
	s_delay_alu instid0(VALU_DEP_2) | instskip(NEXT) | instid1(VALU_DEP_1)
	v_add_f64 v[23:24], v[23:24], -v[25:26]
	v_add_f64 v[19:20], v[19:20], v[23:24]
	v_add_f64 v[23:24], v[29:30], v[17:18]
	s_delay_alu instid0(VALU_DEP_2) | instskip(NEXT) | instid1(VALU_DEP_2)
	v_add_f64 v[21:22], v[27:28], v[19:20]
	v_add_f64 v[29:30], v[23:24], -v[29:30]
	s_delay_alu instid0(VALU_DEP_2) | instskip(SKIP_1) | instid1(VALU_DEP_3)
	v_add_f64 v[25:26], v[27:28], -v[21:22]
	v_mul_f64 v[27:28], v[23:24], v[21:22]
	v_add_f64 v[17:18], v[17:18], -v[29:30]
	s_delay_alu instid0(VALU_DEP_3) | instskip(NEXT) | instid1(VALU_DEP_3)
	v_add_f64 v[19:20], v[19:20], v[25:26]
	v_fma_f64 v[25:26], v[23:24], v[21:22], -v[27:28]
	s_delay_alu instid0(VALU_DEP_1) | instskip(NEXT) | instid1(VALU_DEP_1)
	v_fma_f64 v[19:20], v[23:24], v[19:20], v[25:26]
	v_fma_f64 v[17:18], v[17:18], v[21:22], v[19:20]
	v_cvt_f64_i32_e32 v[21:22], v2
	s_delay_alu instid0(VALU_DEP_2) | instskip(NEXT) | instid1(VALU_DEP_1)
	v_add_f64 v[19:20], v[27:28], v[17:18]
	v_add_f64 v[23:24], v[19:20], -v[27:28]
	v_add_f64 v[25:26], v[13:14], v[19:20]
	s_delay_alu instid0(VALU_DEP_4) | instskip(NEXT) | instid1(VALU_DEP_3)
	v_mul_f64 v[27:28], v[21:22], s[62:63]
	v_add_f64 v[17:18], v[17:18], -v[23:24]
	s_delay_alu instid0(VALU_DEP_3) | instskip(NEXT) | instid1(VALU_DEP_3)
	v_add_f64 v[13:14], v[25:26], -v[13:14]
	v_fma_f64 v[23:24], v[21:22], s[62:63], -v[27:28]
	s_delay_alu instid0(VALU_DEP_3) | instskip(NEXT) | instid1(VALU_DEP_3)
	v_add_f64 v[11:12], v[11:12], v[17:18]
	v_add_f64 v[13:14], v[19:20], -v[13:14]
	s_delay_alu instid0(VALU_DEP_3) | instskip(NEXT) | instid1(VALU_DEP_2)
	v_fma_f64 v[17:18], v[21:22], s[68:69], v[23:24]
	v_add_f64 v[11:12], v[11:12], v[13:14]
	s_delay_alu instid0(VALU_DEP_2) | instskip(NEXT) | instid1(VALU_DEP_2)
	v_add_f64 v[13:14], v[27:28], v[17:18]
	v_add_f64 v[19:20], v[25:26], v[11:12]
	s_delay_alu instid0(VALU_DEP_2) | instskip(NEXT) | instid1(VALU_DEP_2)
	v_add_f64 v[27:28], v[13:14], -v[27:28]
	v_add_f64 v[21:22], v[13:14], v[19:20]
	v_add_f64 v[25:26], v[19:20], -v[25:26]
	s_delay_alu instid0(VALU_DEP_3) | instskip(NEXT) | instid1(VALU_DEP_3)
	v_add_f64 v[17:18], v[17:18], -v[27:28]
	v_add_f64 v[23:24], v[21:22], -v[13:14]
	s_delay_alu instid0(VALU_DEP_3) | instskip(NEXT) | instid1(VALU_DEP_2)
	v_add_f64 v[11:12], v[11:12], -v[25:26]
	v_add_f64 v[29:30], v[21:22], -v[23:24]
	;; [unrolled: 1-line block ×3, first 2 shown]
	s_delay_alu instid0(VALU_DEP_3) | instskip(NEXT) | instid1(VALU_DEP_3)
	v_add_f64 v[23:24], v[17:18], v[11:12]
	v_add_f64 v[13:14], v[13:14], -v[29:30]
	s_delay_alu instid0(VALU_DEP_1) | instskip(NEXT) | instid1(VALU_DEP_3)
	v_add_f64 v[13:14], v[19:20], v[13:14]
	v_add_f64 v[19:20], v[23:24], -v[17:18]
	s_delay_alu instid0(VALU_DEP_2) | instskip(NEXT) | instid1(VALU_DEP_2)
	v_add_f64 v[13:14], v[23:24], v[13:14]
	v_add_f64 v[23:24], v[23:24], -v[19:20]
	v_add_f64 v[11:12], v[11:12], -v[19:20]
	s_delay_alu instid0(VALU_DEP_3) | instskip(NEXT) | instid1(VALU_DEP_3)
	v_add_f64 v[25:26], v[21:22], v[13:14]
	v_add_f64 v[17:18], v[17:18], -v[23:24]
	s_delay_alu instid0(VALU_DEP_2) | instskip(NEXT) | instid1(VALU_DEP_2)
	v_add_f64 v[19:20], v[25:26], -v[21:22]
	v_add_f64 v[11:12], v[11:12], v[17:18]
	s_delay_alu instid0(VALU_DEP_2) | instskip(NEXT) | instid1(VALU_DEP_1)
	v_add_f64 v[13:14], v[13:14], -v[19:20]
	v_add_f64 v[11:12], v[11:12], v[13:14]
	s_delay_alu instid0(VALU_DEP_1) | instskip(NEXT) | instid1(VALU_DEP_1)
	v_add_f64 v[13:14], v[25:26], v[11:12]
	v_add_f64 v[17:18], v[13:14], -v[25:26]
	v_mul_f64 v[19:20], v[4:5], v[13:14]
	s_delay_alu instid0(VALU_DEP_2) | instskip(NEXT) | instid1(VALU_DEP_2)
	v_add_f64 v[11:12], v[11:12], -v[17:18]
	v_fma_f64 v[13:14], v[4:5], v[13:14], -v[19:20]
	v_cmp_class_f64_e64 s5, v[19:20], 0x204
	s_delay_alu instid0(VALU_DEP_2) | instskip(NEXT) | instid1(VALU_DEP_1)
	v_fma_f64 v[4:5], v[4:5], v[11:12], v[13:14]
	v_add_f64 v[11:12], v[19:20], v[4:5]
	s_delay_alu instid0(VALU_DEP_1) | instskip(NEXT) | instid1(VALU_DEP_2)
	v_cndmask_b32_e64 v14, v12, v20, s5
	v_cndmask_b32_e64 v13, v11, v19, s5
	v_add_f64 v[11:12], v[11:12], -v[19:20]
	s_delay_alu instid0(VALU_DEP_2)
	v_mul_f64 v[17:18], v[13:14], s[70:71]
	v_cmp_lt_f64_e64 s5, 0x40900000, v[13:14]
	v_cmp_neq_f64_e64 s6, 0x7ff00000, |v[13:14]|
	v_cmp_ngt_f64_e64 s7, 0xc090cc00, v[13:14]
	v_add_f64 v[4:5], v[4:5], -v[11:12]
	v_rndne_f64_e32 v[17:18], v[17:18]
	s_delay_alu instid0(VALU_DEP_2) | instskip(NEXT) | instid1(VALU_DEP_3)
	v_cndmask_b32_e64 v5, 0, v5, s6
	v_cndmask_b32_e64 v4, 0, v4, s6
	s_delay_alu instid0(VALU_DEP_3) | instskip(SKIP_3) | instid1(VALU_DEP_4)
	v_fma_f64 v[21:22], v[17:18], s[72:73], v[13:14]
	v_cvt_i32_f64_e32 v2, v[17:18]
	v_cndmask_b32_e64 v13, 0, v16, s4
	v_cndmask_b32_e64 v14, 0x3ff00000, v16, s4
	v_fma_f64 v[21:22], v[17:18], s[74:75], v[21:22]
	s_delay_alu instid0(VALU_DEP_1) | instskip(NEXT) | instid1(VALU_DEP_1)
	v_fma_f64 v[23:24], v[21:22], s[78:79], s[76:77]
	v_fma_f64 v[23:24], v[21:22], v[23:24], s[80:81]
	s_delay_alu instid0(VALU_DEP_1) | instskip(NEXT) | instid1(VALU_DEP_1)
	v_fma_f64 v[23:24], v[21:22], v[23:24], s[82:83]
	;; [unrolled: 3-line block ×5, first 2 shown]
	v_fma_f64 v[23:24], v[21:22], v[23:24], 1.0
	s_delay_alu instid0(VALU_DEP_1) | instskip(NEXT) | instid1(VALU_DEP_1)
	v_fma_f64 v[17:18], v[21:22], v[23:24], 1.0
	v_ldexp_f64 v[17:18], v[17:18], v2
	s_delay_alu instid0(VALU_DEP_1) | instskip(NEXT) | instid1(VALU_DEP_2)
	v_cndmask_b32_e64 v2, v17, 0, s5
	v_cndmask_b32_e64 v11, v18, 0x7ff00000, s5
	v_and_b32_e32 v18, 0x7fffffff, v18
	s_delay_alu instid0(VALU_DEP_2) | instskip(NEXT) | instid1(VALU_DEP_4)
	v_cndmask_b32_e64 v12, 0, v11, s7
	v_cndmask_b32_e64 v11, 0, v2, s7
	s_delay_alu instid0(VALU_DEP_3) | instskip(SKIP_2) | instid1(VALU_DEP_4)
	v_cmp_eq_f64_e64 s6, 0x7ff00000, v[17:18]
	v_cndmask_b32_e64 v2, 0, v3, s0
	v_cndmask_b32_e64 v3, 0x3ff00000, v3, s0
	v_fma_f64 v[4:5], v[11:12], v[4:5], v[11:12]
	s_delay_alu instid0(VALU_DEP_3) | instskip(NEXT) | instid1(VALU_DEP_3)
	v_bfi_b32 v9, 0x7fffffff, s98, v2
	v_bfi_b32 v3, 0x7fffffff, v7, v3
	v_bfi_b32 v7, 0x7fffffff, s99, v13
	v_cndmask_b32_e64 v2, v6, 0, vcc_lo
	s_delay_alu instid0(VALU_DEP_3) | instskip(NEXT) | instid1(VALU_DEP_1)
	v_cndmask_b32_e32 v3, v3, v9, vcc_lo
	v_add_f64 v[2:3], -v[2:3], 1.0
	s_or_b32 s0, s5, s6
	s_delay_alu instid0(SALU_CYCLE_1)
	s_and_b32 s0, s7, s0
	s_cmp_lg_u64 s[20:21], 0
	v_cndmask_b32_e64 v5, v5, v12, s0
	v_cndmask_b32_e64 v4, v4, v11, s0
	s_cselect_b32 s3, -1, 0
	s_lshl_b64 s[4:5], s[34:35], 2
	s_lshl_b64 s[6:7], s[34:35], 1
	v_bfi_b32 v5, 0x7fffffff, v5, v14
	v_cndmask_b32_e64 v4, v4, 0, s1
	s_delay_alu instid0(VALU_DEP_2) | instskip(SKIP_1) | instid1(VALU_DEP_2)
	v_cndmask_b32_e64 v5, v5, v7, s1
	v_cvt_f32_f64_e32 v2, v[2:3]
	v_add_f64 v[4:5], -v[4:5], 1.0
	s_delay_alu instid0(VALU_DEP_2) | instskip(SKIP_1) | instid1(VALU_DEP_3)
	v_cmp_gt_f32_e32 vcc_lo, 0xf800000, v2
	v_mul_f32_e32 v3, 0x4f800000, v2
	v_cvt_f32_f64_e32 v6, v[4:5]
	s_delay_alu instid0(VALU_DEP_2) | instskip(NEXT) | instid1(VALU_DEP_1)
	v_cndmask_b32_e32 v12, v2, v3, vcc_lo
	v_sqrt_f32_e32 v2, v12
	s_waitcnt_depctr 0xfff
	v_add_nc_u32_e32 v5, 1, v2
	v_add_nc_u32_e32 v4, -1, v2
	s_delay_alu instid0(VALU_DEP_2) | instskip(SKIP_2) | instid1(VALU_DEP_2)
	v_fma_f32 v9, -v5, v2, v12
	v_div_scale_f32 v7, null, v6, v6, s13
	v_div_scale_f32 v10, s0, s13, v6, s13
	v_rcp_f32_e32 v11, v7
	s_waitcnt_depctr 0xfff
	v_fma_f32 v3, -v7, v11, 1.0
	s_delay_alu instid0(VALU_DEP_1) | instskip(SKIP_1) | instid1(VALU_DEP_2)
	v_fmac_f32_e32 v11, v3, v11
	v_fma_f32 v3, -v4, v2, v12
	v_mul_f32_e32 v13, v10, v11
	s_delay_alu instid0(VALU_DEP_2) | instskip(NEXT) | instid1(VALU_DEP_2)
	v_cmp_ge_f32_e64 s1, 0, v3
	v_fma_f32 v3, -v7, v13, v10
	s_delay_alu instid0(VALU_DEP_2) | instskip(SKIP_2) | instid1(VALU_DEP_2)
	v_cndmask_b32_e64 v2, v2, v4, s1
	v_cmp_lt_f32_e64 s1, 0, v9
	v_mul_f32_e64 v9, s13, s44
	v_cndmask_b32_e64 v14, v2, v5, s1
	v_lshlrev_b64 v[4:5], 1, v[0:1]
	v_cmp_neq_f32_e64 s1, s44, 0
	s_delay_alu instid0(VALU_DEP_3) | instskip(NEXT) | instid1(VALU_DEP_1)
	v_mul_f32_e32 v15, 0x37800000, v14
	v_cndmask_b32_e32 v14, v14, v15, vcc_lo
	v_fmac_f32_e32 v13, v3, v11
	s_mov_b32 vcc_lo, s0
	v_lshlrev_b64 v[2:3], 2, v[0:1]
	s_delay_alu instid0(VALU_DEP_2) | instskip(SKIP_1) | instid1(VALU_DEP_2)
	v_fma_f32 v7, -v7, v13, v10
	v_sub_f32_e64 v10, 1.0, s15
	v_div_fmas_f32 v7, v7, v11, v13
	v_cmp_class_f32_e64 vcc_lo, v12, 0x260
	v_sub_f32_e64 v11, 1.0, s14
	s_delay_alu instid0(VALU_DEP_3)
	v_div_fixup_f32 v13, v7, v6, s13
	v_cndmask_b32_e32 v12, v14, v12, vcc_lo
	v_add_co_u32 v4, vcc_lo, s20, v4
	v_add_co_ci_u32_e32 v5, vcc_lo, s21, v5, vcc_lo
	s_branch .LBB2_23
.LBB2_22:                               ;   in Loop: Header=BB2_23 Depth=1
	s_add_u32 s22, s22, s4
	s_addc_u32 s23, s23, s5
	s_add_u32 s16, s16, s4
	s_addc_u32 s17, s17, s5
	s_add_u32 s24, s24, s4
	v_add_co_u32 v0, vcc_lo, v0, s34
	s_addc_u32 s25, s25, s5
	s_add_u32 s28, s28, s4
	v_add_co_ci_u32_e32 v1, vcc_lo, 0, v1, vcc_lo
	s_addc_u32 s29, s29, s5
	s_add_u32 s36, s36, s4
	s_addc_u32 s37, s37, s5
	s_add_u32 s38, s38, s4
	;; [unrolled: 2-line block ×3, first 2 shown]
	v_cmp_le_u64_e32 vcc_lo, s[10:11], v[0:1]
	s_addc_u32 s19, s19, s5
	v_add_co_u32 v4, s0, v4, s6
	s_add_u32 s26, s26, s4
	s_addc_u32 s27, s27, s5
	v_add_co_ci_u32_e64 v5, s0, s7, v5, s0
	s_add_u32 s30, s30, s4
	s_addc_u32 s31, s31, s5
	s_or_b32 s35, vcc_lo, s35
	s_delay_alu instid0(SALU_CYCLE_1)
	s_and_not1_b32 exec_lo, exec_lo, s35
	s_cbranch_execz .LBB2_34
.LBB2_23:                               ; =>This Inner Loop Header: Depth=1
	v_add_co_u32 v6, vcc_lo, s22, v2
	v_add_co_ci_u32_e32 v7, vcc_lo, s23, v3, vcc_lo
	global_load_b32 v19, v[6:7], off
	v_add_co_u32 v6, vcc_lo, s16, v2
	v_add_co_ci_u32_e32 v7, vcc_lo, s17, v3, vcc_lo
	v_add_co_u32 v15, vcc_lo, s24, v2
	v_add_co_ci_u32_e32 v16, vcc_lo, s25, v3, vcc_lo
	;; [unrolled: 2-line block ×3, first 2 shown]
	global_load_b32 v14, v[6:7], off
	global_load_b32 v6, v[15:16], off
	;; [unrolled: 1-line block ×3, first 2 shown]
	s_waitcnt vmcnt(3)
	v_div_scale_f32 v7, null, v8, v8, v19
	s_delay_alu instid0(VALU_DEP_1) | instskip(SKIP_2) | instid1(VALU_DEP_1)
	v_rcp_f32_e32 v15, v7
	s_waitcnt_depctr 0xfff
	v_fma_f32 v17, -v7, v15, 1.0
	v_fmac_f32_e32 v15, v17, v15
	v_div_scale_f32 v17, vcc_lo, v19, v8, v19
	s_delay_alu instid0(VALU_DEP_1) | instskip(NEXT) | instid1(VALU_DEP_1)
	v_mul_f32_e32 v18, v17, v15
	v_fma_f32 v20, -v7, v18, v17
	s_delay_alu instid0(VALU_DEP_1) | instskip(NEXT) | instid1(VALU_DEP_1)
	v_fmac_f32_e32 v18, v20, v15
	v_fma_f32 v7, -v7, v18, v17
	s_delay_alu instid0(VALU_DEP_1) | instskip(SKIP_1) | instid1(VALU_DEP_1)
	v_div_fmas_f32 v7, v7, v15, v18
	s_and_not1_b32 vcc_lo, exec_lo, s1
	v_div_fixup_f32 v7, v7, v8, v19
	s_delay_alu instid0(VALU_DEP_1) | instskip(NEXT) | instid1(VALU_DEP_1)
	v_cndmask_b32_e64 v7, v7, v19, s2
	v_cndmask_b32_e64 v7, v7, -v7, s12
	s_cbranch_vccnz .LBB2_29
; %bb.24:                               ;   in Loop: Header=BB2_23 Depth=1
	s_and_b32 vcc_lo, exec_lo, s97
	s_cbranch_vccz .LBB2_26
; %bb.25:                               ;   in Loop: Header=BB2_23 Depth=1
	s_waitcnt vmcnt(2)
	v_fma_f32 v15, s44, v14, v7
	s_cbranch_execz .LBB2_27
	s_branch .LBB2_28
.LBB2_26:                               ;   in Loop: Header=BB2_23 Depth=1
                                        ; implicit-def: $vgpr15
.LBB2_27:                               ;   in Loop: Header=BB2_23 Depth=1
	s_waitcnt vmcnt(2)
	v_fma_f32 v14, -v9, v14, v14
	v_mov_b32_e32 v15, v7
.LBB2_28:                               ;   in Loop: Header=BB2_23 Depth=1
	s_delay_alu instid0(VALU_DEP_1)
	v_mov_b32_e32 v7, v15
.LBB2_29:                               ;   in Loop: Header=BB2_23 Depth=1
	s_delay_alu instid0(VALU_DEP_1) | instskip(SKIP_1) | instid1(VALU_DEP_1)
	v_mul_f32_e32 v15, v7, v7
	s_and_not1_b32 vcc_lo, exec_lo, s33
	v_mul_f32_e32 v15, v10, v15
	s_waitcnt vmcnt(0)
	s_delay_alu instid0(VALU_DEP_1) | instskip(NEXT) | instid1(VALU_DEP_1)
	v_fmac_f32_e32 v15, s15, v16
	v_mov_b32_e32 v16, v15
	s_cbranch_vccnz .LBB2_31
; %bb.30:                               ;   in Loop: Header=BB2_23 Depth=1
	v_add_co_u32 v16, vcc_lo, s36, v2
	v_add_co_ci_u32_e32 v17, vcc_lo, s37, v3, vcc_lo
	global_load_b32 v16, v[16:17], off
	s_waitcnt vmcnt(0)
	v_dual_max_f32 v17, v15, v15 :: v_dual_max_f32 v16, v16, v16
	s_delay_alu instid0(VALU_DEP_1)
	v_max_f32_e32 v16, v16, v17
	v_add_co_u32 v17, vcc_lo, s38, v2
	v_add_co_ci_u32_e32 v18, vcc_lo, s39, v3, vcc_lo
	global_store_b32 v[17:18], v16, off
.LBB2_31:                               ;   in Loop: Header=BB2_23 Depth=1
	s_delay_alu instid0(VALU_DEP_1) | instskip(SKIP_1) | instid1(VALU_DEP_2)
	v_mul_f32_e32 v17, 0x4f800000, v16
	v_cmp_gt_f32_e32 vcc_lo, 0xf800000, v16
	v_cndmask_b32_e32 v16, v16, v17, vcc_lo
	s_delay_alu instid0(VALU_DEP_1) | instskip(SKIP_3) | instid1(VALU_DEP_2)
	v_sqrt_f32_e32 v17, v16
	s_waitcnt_depctr 0xfff
	v_add_nc_u32_e32 v18, -1, v17
	v_add_nc_u32_e32 v19, 1, v17
	v_fma_f32 v20, -v18, v17, v16
	s_delay_alu instid0(VALU_DEP_2) | instskip(NEXT) | instid1(VALU_DEP_2)
	v_fma_f32 v21, -v19, v17, v16
	v_cmp_ge_f32_e64 s0, 0, v20
	s_delay_alu instid0(VALU_DEP_1) | instskip(NEXT) | instid1(VALU_DEP_3)
	v_cndmask_b32_e64 v17, v17, v18, s0
	v_cmp_lt_f32_e64 s0, 0, v21
	s_delay_alu instid0(VALU_DEP_1) | instskip(NEXT) | instid1(VALU_DEP_1)
	v_cndmask_b32_e64 v17, v17, v19, s0
	v_mul_f32_e32 v18, 0x37800000, v17
	s_delay_alu instid0(VALU_DEP_1) | instskip(SKIP_1) | instid1(VALU_DEP_2)
	v_cndmask_b32_e32 v17, v17, v18, vcc_lo
	v_cmp_class_f32_e64 vcc_lo, v16, 0x260
	v_cndmask_b32_e32 v16, v17, v16, vcc_lo
	s_delay_alu instid0(VALU_DEP_1) | instskip(SKIP_1) | instid1(VALU_DEP_2)
	v_div_scale_f32 v17, null, v12, v12, v16
	v_div_scale_f32 v20, vcc_lo, v16, v12, v16
	v_rcp_f32_e32 v18, v17
	s_waitcnt_depctr 0xfff
	v_fma_f32 v19, -v17, v18, 1.0
	s_delay_alu instid0(VALU_DEP_1) | instskip(NEXT) | instid1(VALU_DEP_1)
	v_fmac_f32_e32 v18, v19, v18
	v_mul_f32_e32 v19, v20, v18
	s_delay_alu instid0(VALU_DEP_1) | instskip(NEXT) | instid1(VALU_DEP_1)
	v_fma_f32 v21, -v17, v19, v20
	v_fmac_f32_e32 v19, v21, v18
	s_delay_alu instid0(VALU_DEP_1) | instskip(SKIP_1) | instid1(VALU_DEP_2)
	v_fma_f32 v17, -v17, v19, v20
	v_mul_f32_e32 v20, v11, v7
	v_div_fmas_f32 v7, v17, v18, v19
	s_delay_alu instid0(VALU_DEP_2) | instskip(NEXT) | instid1(VALU_DEP_2)
	v_fmac_f32_e32 v20, s14, v6
	v_div_fixup_f32 v6, v7, v12, v16
	s_delay_alu instid0(VALU_DEP_1) | instskip(NEXT) | instid1(VALU_DEP_1)
	v_dual_mul_f32 v16, v13, v20 :: v_dual_add_f32 v17, s45, v6
	v_div_scale_f32 v6, null, v17, v17, v16
	v_div_scale_f32 v19, vcc_lo, v16, v17, v16
	s_delay_alu instid0(VALU_DEP_2) | instskip(SKIP_2) | instid1(VALU_DEP_1)
	v_rcp_f32_e32 v7, v6
	s_waitcnt_depctr 0xfff
	v_fma_f32 v18, -v6, v7, 1.0
	v_fmac_f32_e32 v7, v18, v7
	s_delay_alu instid0(VALU_DEP_1) | instskip(NEXT) | instid1(VALU_DEP_1)
	v_mul_f32_e32 v18, v19, v7
	v_fma_f32 v21, -v6, v18, v19
	s_delay_alu instid0(VALU_DEP_1) | instskip(NEXT) | instid1(VALU_DEP_1)
	v_fmac_f32_e32 v18, v21, v7
	v_fma_f32 v6, -v6, v18, v19
	s_delay_alu instid0(VALU_DEP_1) | instskip(SKIP_2) | instid1(VALU_DEP_3)
	v_div_fmas_f32 v18, v6, v7, v18
	v_add_co_u32 v6, vcc_lo, s18, v2
	v_add_co_ci_u32_e32 v7, vcc_lo, s19, v3, vcc_lo
	v_div_fixup_f32 v18, v18, v17, v16
	v_add_co_u32 v16, vcc_lo, s26, v2
	v_add_co_ci_u32_e32 v17, vcc_lo, s27, v3, vcc_lo
	s_delay_alu instid0(VALU_DEP_3)
	v_sub_f32_e32 v14, v14, v18
	v_add_co_u32 v18, vcc_lo, s30, v2
	v_add_co_ci_u32_e32 v19, vcc_lo, s31, v3, vcc_lo
	s_and_not1_b32 vcc_lo, exec_lo, s3
	global_store_b32 v[6:7], v14, off
	global_store_b32 v[16:17], v20, off
	;; [unrolled: 1-line block ×3, first 2 shown]
	s_cbranch_vccnz .LBB2_22
; %bb.32:                               ;   in Loop: Header=BB2_23 Depth=1
	global_load_b32 v6, v[6:7], off
	s_waitcnt vmcnt(0)
	v_cvt_f16_f32_e32 v6, v6
	global_store_b16 v[4:5], v6, off
	s_branch .LBB2_22
.LBB2_33:
	s_cbranch_execnz .LBB2_18
.LBB2_34:
	s_nop 0
	s_sendmsg sendmsg(MSG_DEALLOC_VGPRS)
	s_endpgm
	.section	.rodata,"a",@progbits
	.p2align	6, 0x0
	.amdhsa_kernel AmpAdamContiguous
		.amdhsa_group_segment_fixed_size 0
		.amdhsa_private_segment_fixed_size 0
		.amdhsa_kernarg_size 392
		.amdhsa_user_sgpr_count 15
		.amdhsa_user_sgpr_dispatch_ptr 0
		.amdhsa_user_sgpr_queue_ptr 0
		.amdhsa_user_sgpr_kernarg_segment_ptr 1
		.amdhsa_user_sgpr_dispatch_id 0
		.amdhsa_user_sgpr_private_segment_size 0
		.amdhsa_wavefront_size32 1
		.amdhsa_uses_dynamic_stack 0
		.amdhsa_enable_private_segment 0
		.amdhsa_system_sgpr_workgroup_id_x 1
		.amdhsa_system_sgpr_workgroup_id_y 0
		.amdhsa_system_sgpr_workgroup_id_z 0
		.amdhsa_system_sgpr_workgroup_info 0
		.amdhsa_system_vgpr_workitem_id 0
		.amdhsa_next_free_vgpr 33
		.amdhsa_next_free_sgpr 102
		.amdhsa_reserve_vcc 1
		.amdhsa_float_round_mode_32 0
		.amdhsa_float_round_mode_16_64 0
		.amdhsa_float_denorm_mode_32 3
		.amdhsa_float_denorm_mode_16_64 3
		.amdhsa_dx10_clamp 1
		.amdhsa_ieee_mode 1
		.amdhsa_fp16_overflow 0
		.amdhsa_workgroup_processor_mode 1
		.amdhsa_memory_ordered 1
		.amdhsa_forward_progress 0
		.amdhsa_shared_vgpr_count 0
		.amdhsa_exception_fp_ieee_invalid_op 0
		.amdhsa_exception_fp_denorm_src 0
		.amdhsa_exception_fp_ieee_div_zero 0
		.amdhsa_exception_fp_ieee_overflow 0
		.amdhsa_exception_fp_ieee_underflow 0
		.amdhsa_exception_fp_ieee_inexact 0
		.amdhsa_exception_int_div_zero 0
	.end_amdhsa_kernel
	.text
.Lfunc_end2:
	.size	AmpAdamContiguous, .Lfunc_end2-AmpAdamContiguous
                                        ; -- End function
	.section	.AMDGPU.csdata,"",@progbits
; Kernel info:
; codeLenInByte = 5924
; NumSgprs: 104
; NumVgprs: 33
; ScratchSize: 0
; MemoryBound: 0
; FloatMode: 240
; IeeeMode: 1
; LDSByteSize: 0 bytes/workgroup (compile time only)
; SGPRBlocks: 12
; VGPRBlocks: 4
; NumSGPRsForWavesPerEU: 104
; NumVGPRsForWavesPerEU: 33
; Occupancy: 16
; WaveLimiterHint : 0
; COMPUTE_PGM_RSRC2:SCRATCH_EN: 0
; COMPUTE_PGM_RSRC2:USER_SGPR: 15
; COMPUTE_PGM_RSRC2:TRAP_HANDLER: 0
; COMPUTE_PGM_RSRC2:TGID_X_EN: 1
; COMPUTE_PGM_RSRC2:TGID_Y_EN: 0
; COMPUTE_PGM_RSRC2:TGID_Z_EN: 0
; COMPUTE_PGM_RSRC2:TIDIG_COMP_CNT: 0
	.text
	.protected	AdamUpdateStep          ; -- Begin function AdamUpdateStep
	.globl	AdamUpdateStep
	.p2align	8
	.type	AdamUpdateStep,@function
AdamUpdateStep:                         ; @AdamUpdateStep
; %bb.0:
	s_load_b32 s2, s[0:1], 0x24
	v_sub_nc_u32_e32 v0, 0, v0
	s_mov_b32 s3, exec_lo
	s_waitcnt lgkmcnt(0)
	s_and_b32 s2, s2, 0xffff
	s_delay_alu instid0(SALU_CYCLE_1)
	s_mul_i32 s15, s15, s2
	s_mov_b32 s2, 0
	v_cmpx_eq_u32_e64 s15, v0
	s_cbranch_execz .LBB3_10
; %bb.1:
	s_clause 0x1
	s_load_b128 s[4:7], s[0:1], 0x0
	s_load_b64 s[0:1], s[0:1], 0x10
	s_waitcnt lgkmcnt(0)
	s_cmp_eq_u64 s[4:5], 0
	s_cselect_b32 s8, -1, 0
	s_delay_alu instid0(SALU_CYCLE_1)
	s_and_b32 vcc_lo, exec_lo, s8
	s_cbranch_vccnz .LBB3_6
; %bb.2:
	v_mov_b32_e32 v0, 0
	global_load_u8 v0, v0, s[4:5]
	s_waitcnt vmcnt(0)
	v_and_b32_e32 v0, 1, v0
	s_delay_alu instid0(VALU_DEP_1)
	v_cmp_eq_u32_e32 vcc_lo, 1, v0
	s_cbranch_vccz .LBB3_5
; %bb.3:
	s_cmp_lg_u64 s[6:7], s[0:1]
	s_mov_b32 s8, 0
	s_cbranch_scc0 .LBB3_6
; %bb.4:
	s_load_b32 s3, s[6:7], 0x0
	s_mov_b32 s2, -1
	s_and_b32 vcc_lo, exec_lo, s8
	s_cbranch_vccnz .LBB3_7
	s_branch .LBB3_8
.LBB3_5:
	s_mov_b32 s8, -1
.LBB3_6:
                                        ; implicit-def: $sgpr3
	s_delay_alu instid0(SALU_CYCLE_1)
	s_and_b32 vcc_lo, exec_lo, s8
	s_cbranch_vccz .LBB3_8
.LBB3_7:
	s_load_b32 s2, s[6:7], 0x0
	s_waitcnt lgkmcnt(0)
	s_add_i32 s3, s2, 1
	s_mov_b32 s2, -1
.LBB3_8:
	s_delay_alu instid0(SALU_CYCLE_1)
	s_and_not1_b32 vcc_lo, exec_lo, s2
	s_cbranch_vccnz .LBB3_10
; %bb.9:
	s_waitcnt lgkmcnt(0)
	v_dual_mov_b32 v0, 0 :: v_dual_mov_b32 v1, s3
	global_store_b32 v0, v1, s[0:1]
.LBB3_10:
	s_nop 0
	s_sendmsg sendmsg(MSG_DEALLOC_VGPRS)
	s_endpgm
	.section	.rodata,"a",@progbits
	.p2align	6, 0x0
	.amdhsa_kernel AdamUpdateStep
		.amdhsa_group_segment_fixed_size 0
		.amdhsa_private_segment_fixed_size 0
		.amdhsa_kernarg_size 280
		.amdhsa_user_sgpr_count 15
		.amdhsa_user_sgpr_dispatch_ptr 0
		.amdhsa_user_sgpr_queue_ptr 0
		.amdhsa_user_sgpr_kernarg_segment_ptr 1
		.amdhsa_user_sgpr_dispatch_id 0
		.amdhsa_user_sgpr_private_segment_size 0
		.amdhsa_wavefront_size32 1
		.amdhsa_uses_dynamic_stack 0
		.amdhsa_enable_private_segment 0
		.amdhsa_system_sgpr_workgroup_id_x 1
		.amdhsa_system_sgpr_workgroup_id_y 0
		.amdhsa_system_sgpr_workgroup_id_z 0
		.amdhsa_system_sgpr_workgroup_info 0
		.amdhsa_system_vgpr_workitem_id 0
		.amdhsa_next_free_vgpr 2
		.amdhsa_next_free_sgpr 16
		.amdhsa_reserve_vcc 1
		.amdhsa_float_round_mode_32 0
		.amdhsa_float_round_mode_16_64 0
		.amdhsa_float_denorm_mode_32 3
		.amdhsa_float_denorm_mode_16_64 3
		.amdhsa_dx10_clamp 1
		.amdhsa_ieee_mode 1
		.amdhsa_fp16_overflow 0
		.amdhsa_workgroup_processor_mode 1
		.amdhsa_memory_ordered 1
		.amdhsa_forward_progress 0
		.amdhsa_shared_vgpr_count 0
		.amdhsa_exception_fp_ieee_invalid_op 0
		.amdhsa_exception_fp_denorm_src 0
		.amdhsa_exception_fp_ieee_div_zero 0
		.amdhsa_exception_fp_ieee_overflow 0
		.amdhsa_exception_fp_ieee_underflow 0
		.amdhsa_exception_fp_ieee_inexact 0
		.amdhsa_exception_int_div_zero 0
	.end_amdhsa_kernel
	.text
.Lfunc_end3:
	.size	AdamUpdateStep, .Lfunc_end3-AdamUpdateStep
                                        ; -- End function
	.section	.AMDGPU.csdata,"",@progbits
; Kernel info:
; codeLenInByte = 244
; NumSgprs: 18
; NumVgprs: 2
; ScratchSize: 0
; MemoryBound: 0
; FloatMode: 240
; IeeeMode: 1
; LDSByteSize: 0 bytes/workgroup (compile time only)
; SGPRBlocks: 2
; VGPRBlocks: 0
; NumSGPRsForWavesPerEU: 18
; NumVGPRsForWavesPerEU: 2
; Occupancy: 16
; WaveLimiterHint : 0
; COMPUTE_PGM_RSRC2:SCRATCH_EN: 0
; COMPUTE_PGM_RSRC2:USER_SGPR: 15
; COMPUTE_PGM_RSRC2:TRAP_HANDLER: 0
; COMPUTE_PGM_RSRC2:TGID_X_EN: 1
; COMPUTE_PGM_RSRC2:TGID_Y_EN: 0
; COMPUTE_PGM_RSRC2:TGID_Z_EN: 0
; COMPUTE_PGM_RSRC2:TIDIG_COMP_CNT: 0
	.text
	.protected	TransformersAdamWContiguous ; -- Begin function TransformersAdamWContiguous
	.globl	TransformersAdamWContiguous
	.p2align	8
	.type	TransformersAdamWContiguous,@function
TransformersAdamWContiguous:            ; @TransformersAdamWContiguous
; %bb.0:
	s_clause 0x1
	s_load_b32 s6, s[0:1], 0x64
	s_load_b64 s[2:3], s[0:1], 0x50
	s_add_u32 s4, s0, 0x58
	s_addc_u32 s5, s1, 0
	s_waitcnt lgkmcnt(0)
	s_and_b32 s24, s6, 0xffff
	s_mov_b32 s6, exec_lo
	v_mad_u64_u32 v[1:2], null, s15, s24, v[0:1]
	v_mov_b32_e32 v2, 0
	s_delay_alu instid0(VALU_DEP_1)
	v_cmpx_gt_u64_e64 s[2:3], v[1:2]
	s_cbranch_execz .LBB4_3
; %bb.1:
	s_load_b32 s25, s[4:5], 0x0
	s_clause 0x3
	s_load_b128 s[20:23], s[0:1], 0x38
	s_load_b256 s[4:11], s[0:1], 0x0
	s_load_b256 s[12:19], s[0:1], 0x20
	s_load_b32 s26, s[0:1], 0x48
	v_lshlrev_b64 v[3:4], 2, v[1:2]
	s_waitcnt lgkmcnt(0)
	s_mov_b32 s19, 0
	s_mul_i32 s18, s25, s24
	v_sub_f32_e64 v0, 1.0, s20
	v_sub_f32_e64 v5, 1.0, s21
	s_lshl_b64 s[24:25], s[18:19], 2
.LBB4_2:                                ; =>This Inner Loop Header: Depth=1
	v_add_co_u32 v6, vcc_lo, s14, v3
	v_add_co_ci_u32_e32 v7, vcc_lo, s15, v4, vcc_lo
	v_add_co_u32 v8, vcc_lo, s8, v3
	v_add_co_ci_u32_e32 v9, vcc_lo, s9, v4, vcc_lo
	v_add_co_u32 v1, s1, v1, s18
	global_load_b32 v10, v[6:7], off
	global_load_b32 v8, v[8:9], off
	v_add_co_u32 v6, vcc_lo, s10, v3
	v_add_co_ci_u32_e32 v7, vcc_lo, s11, v4, vcc_lo
	global_load_b32 v9, v[6:7], off
	v_add_co_u32 v6, vcc_lo, s4, v3
	v_add_co_ci_u32_e32 v7, vcc_lo, s5, v4, vcc_lo
	global_load_b32 v12, v[6:7], off
	s_waitcnt vmcnt(2)
	v_dual_mul_f32 v13, s21, v10 :: v_dual_mul_f32 v6, v8, v8
	s_delay_alu instid0(VALU_DEP_1) | instskip(NEXT) | instid1(VALU_DEP_1)
	v_fmac_f32_e32 v13, v5, v6
	v_mul_f32_e32 v6, 0x4f800000, v13
	v_cmp_gt_f32_e32 vcc_lo, 0xf800000, v13
	s_delay_alu instid0(VALU_DEP_2) | instskip(NEXT) | instid1(VALU_DEP_1)
	v_cndmask_b32_e32 v6, v13, v6, vcc_lo
	v_sqrt_f32_e32 v7, v6
	s_waitcnt_depctr 0xfff
	v_add_nc_u32_e32 v11, 1, v7
	v_add_nc_u32_e32 v10, -1, v7
	s_delay_alu instid0(VALU_DEP_2) | instskip(NEXT) | instid1(VALU_DEP_2)
	v_fma_f32 v15, -v11, v7, v6
	v_fma_f32 v14, -v10, v7, v6
	s_delay_alu instid0(VALU_DEP_1) | instskip(NEXT) | instid1(VALU_DEP_1)
	v_cmp_ge_f32_e64 s0, 0, v14
	v_cndmask_b32_e64 v7, v7, v10, s0
	s_delay_alu instid0(VALU_DEP_4) | instskip(NEXT) | instid1(VALU_DEP_1)
	v_cmp_lt_f32_e64 s0, 0, v15
	v_cndmask_b32_e64 v7, v7, v11, s0
	s_waitcnt vmcnt(1)
	v_mul_f32_e32 v14, s20, v9
	s_delay_alu instid0(VALU_DEP_1) | instskip(NEXT) | instid1(VALU_DEP_1)
	v_fmac_f32_e32 v14, v0, v8
	v_dual_mul_f32 v10, 0x37800000, v7 :: v_dual_mul_f32 v15, s26, v14
	s_delay_alu instid0(VALU_DEP_1) | instskip(SKIP_1) | instid1(VALU_DEP_2)
	v_cndmask_b32_e32 v7, v7, v10, vcc_lo
	v_cmp_class_f32_e64 vcc_lo, v6, 0x260
	v_cndmask_b32_e32 v6, v7, v6, vcc_lo
	s_delay_alu instid0(VALU_DEP_1) | instskip(SKIP_2) | instid1(VALU_DEP_3)
	v_add_f32_e32 v16, s22, v6
	v_add_co_u32 v6, vcc_lo, s6, v3
	v_add_co_ci_u32_e32 v7, vcc_lo, s7, v4, vcc_lo
	v_div_scale_f32 v17, null, v16, v16, v15
	v_div_scale_f32 v19, s0, v15, v16, v15
	v_add_co_u32 v8, vcc_lo, s12, v3
	s_delay_alu instid0(VALU_DEP_3) | instskip(SKIP_2) | instid1(VALU_DEP_1)
	v_rcp_f32_e32 v18, v17
	s_waitcnt_depctr 0xfff
	v_fma_f32 v9, -v17, v18, 1.0
	v_fmac_f32_e32 v18, v9, v18
	v_add_co_ci_u32_e32 v9, vcc_lo, s13, v4, vcc_lo
	v_add_co_u32 v10, vcc_lo, s16, v3
	s_delay_alu instid0(VALU_DEP_3) | instskip(SKIP_2) | instid1(VALU_DEP_2)
	v_mul_f32_e32 v20, v19, v18
	v_add_co_ci_u32_e32 v11, vcc_lo, s17, v4, vcc_lo
	s_mov_b32 vcc_lo, s0
	v_fma_f32 v21, -v17, v20, v19
	s_delay_alu instid0(VALU_DEP_1) | instskip(NEXT) | instid1(VALU_DEP_1)
	v_fmac_f32_e32 v20, v21, v18
	v_fma_f32 v17, -v17, v20, v19
	s_delay_alu instid0(VALU_DEP_1) | instskip(SKIP_2) | instid1(VALU_DEP_3)
	v_div_fmas_f32 v17, v17, v18, v20
	v_add_co_ci_u32_e64 v2, vcc_lo, 0, v2, s1
	v_add_co_u32 v3, vcc_lo, v3, s24
	v_div_fixup_f32 v15, v17, v16, v15
	s_delay_alu instid0(VALU_DEP_3) | instskip(SKIP_2) | instid1(VALU_DEP_3)
	v_cmp_le_u64_e64 s0, s[2:3], v[1:2]
	v_add_co_ci_u32_e32 v4, vcc_lo, s25, v4, vcc_lo
	s_waitcnt vmcnt(0)
	v_sub_f32_e32 v12, v12, v15
	s_delay_alu instid0(VALU_DEP_3) | instskip(NEXT) | instid1(VALU_DEP_1)
	s_or_b32 s19, s0, s19
	v_fma_f32 v12, -v12, s23, v12
	global_store_b32 v[6:7], v12, off
	global_store_b32 v[8:9], v14, off
	;; [unrolled: 1-line block ×3, first 2 shown]
	s_and_not1_b32 exec_lo, exec_lo, s19
	s_cbranch_execnz .LBB4_2
.LBB4_3:
	s_nop 0
	s_sendmsg sendmsg(MSG_DEALLOC_VGPRS)
	s_endpgm
	.section	.rodata,"a",@progbits
	.p2align	6, 0x0
	.amdhsa_kernel TransformersAdamWContiguous
		.amdhsa_group_segment_fixed_size 0
		.amdhsa_private_segment_fixed_size 0
		.amdhsa_kernarg_size 344
		.amdhsa_user_sgpr_count 15
		.amdhsa_user_sgpr_dispatch_ptr 0
		.amdhsa_user_sgpr_queue_ptr 0
		.amdhsa_user_sgpr_kernarg_segment_ptr 1
		.amdhsa_user_sgpr_dispatch_id 0
		.amdhsa_user_sgpr_private_segment_size 0
		.amdhsa_wavefront_size32 1
		.amdhsa_uses_dynamic_stack 0
		.amdhsa_enable_private_segment 0
		.amdhsa_system_sgpr_workgroup_id_x 1
		.amdhsa_system_sgpr_workgroup_id_y 0
		.amdhsa_system_sgpr_workgroup_id_z 0
		.amdhsa_system_sgpr_workgroup_info 0
		.amdhsa_system_vgpr_workitem_id 0
		.amdhsa_next_free_vgpr 22
		.amdhsa_next_free_sgpr 27
		.amdhsa_reserve_vcc 1
		.amdhsa_float_round_mode_32 0
		.amdhsa_float_round_mode_16_64 0
		.amdhsa_float_denorm_mode_32 3
		.amdhsa_float_denorm_mode_16_64 3
		.amdhsa_dx10_clamp 1
		.amdhsa_ieee_mode 1
		.amdhsa_fp16_overflow 0
		.amdhsa_workgroup_processor_mode 1
		.amdhsa_memory_ordered 1
		.amdhsa_forward_progress 0
		.amdhsa_shared_vgpr_count 0
		.amdhsa_exception_fp_ieee_invalid_op 0
		.amdhsa_exception_fp_denorm_src 0
		.amdhsa_exception_fp_ieee_div_zero 0
		.amdhsa_exception_fp_ieee_overflow 0
		.amdhsa_exception_fp_ieee_underflow 0
		.amdhsa_exception_fp_ieee_inexact 0
		.amdhsa_exception_int_div_zero 0
	.end_amdhsa_kernel
	.text
.Lfunc_end4:
	.size	TransformersAdamWContiguous, .Lfunc_end4-TransformersAdamWContiguous
                                        ; -- End function
	.section	.AMDGPU.csdata,"",@progbits
; Kernel info:
; codeLenInByte = 660
; NumSgprs: 29
; NumVgprs: 22
; ScratchSize: 0
; MemoryBound: 0
; FloatMode: 240
; IeeeMode: 1
; LDSByteSize: 0 bytes/workgroup (compile time only)
; SGPRBlocks: 3
; VGPRBlocks: 2
; NumSGPRsForWavesPerEU: 29
; NumVGPRsForWavesPerEU: 22
; Occupancy: 16
; WaveLimiterHint : 0
; COMPUTE_PGM_RSRC2:SCRATCH_EN: 0
; COMPUTE_PGM_RSRC2:USER_SGPR: 15
; COMPUTE_PGM_RSRC2:TRAP_HANDLER: 0
; COMPUTE_PGM_RSRC2:TGID_X_EN: 1
; COMPUTE_PGM_RSRC2:TGID_Y_EN: 0
; COMPUTE_PGM_RSRC2:TGID_Z_EN: 0
; COMPUTE_PGM_RSRC2:TIDIG_COMP_CNT: 0
	.text
	.protected	TransformersAmpAdamWContiguous ; -- Begin function TransformersAmpAdamWContiguous
	.globl	TransformersAmpAdamWContiguous
	.p2align	8
	.type	TransformersAmpAdamWContiguous,@function
TransformersAmpAdamWContiguous:         ; @TransformersAmpAdamWContiguous
; %bb.0:
	s_clause 0x1
	s_load_b32 s4, s[0:1], 0x7c
	s_load_b64 s[8:9], s[0:1], 0x68
	s_add_u32 s2, s0, 0x70
	s_addc_u32 s3, s1, 0
	s_waitcnt lgkmcnt(0)
	s_and_b32 s10, s4, 0xffff
	s_mov_b32 s4, exec_lo
	v_mad_u64_u32 v[1:2], null, s15, s10, v[0:1]
	v_mov_b32_e32 v2, 0
	s_delay_alu instid0(VALU_DEP_1)
	v_cmpx_gt_u64_e64 s[8:9], v[1:2]
	s_cbranch_execz .LBB5_23
; %bb.1:
	s_clause 0x1
	s_load_b128 s[4:7], s[0:1], 0x40
	s_load_b512 s[16:31], s[0:1], 0x0
	s_load_b32 s11, s[2:3], 0x0
	s_waitcnt lgkmcnt(0)
	s_cmp_eq_u64 s[6:7], 0
	s_cselect_b32 s12, -1, 0
	s_delay_alu instid0(SALU_CYCLE_1)
	s_and_b32 vcc_lo, exec_lo, s12
	s_cbranch_vccnz .LBB5_15
; %bb.2:
	v_mov_b32_e32 v4, 0
	global_load_u8 v3, v4, s[6:7]
	s_waitcnt vmcnt(0)
	v_cmp_ne_u16_e32 vcc_lo, 0, v3
	s_cbranch_vccz .LBB5_22
; %bb.3:
	s_cmp_lt_u32 s15, s11
	s_cselect_b32 s6, 12, 18
	s_delay_alu instid0(SALU_CYCLE_1)
	s_add_u32 s2, s2, s6
	s_addc_u32 s3, s3, 0
	global_load_u16 v5, v4, s[2:3]
	s_mov_b32 s3, exec_lo
	s_waitcnt vmcnt(0)
	v_mad_u64_u32 v[6:7], null, s15, v5, v[0:1]
	s_delay_alu instid0(VALU_DEP_1) | instskip(NEXT) | instid1(VALU_DEP_1)
	v_mov_b32_e32 v3, v6
	v_cmpx_gt_u64_e64 s[8:9], v[3:4]
	s_cbranch_execz .LBB5_14
; %bb.4:
	v_mul_lo_u32 v5, s11, v5
	v_lshlrev_b64 v[11:12], 1, v[3:4]
	v_mov_b32_e32 v6, 0
	s_cmp_lg_u64 s[16:17], s[18:19]
	v_lshlrev_b64 v[7:8], 2, v[3:4]
	s_cselect_b32 s6, -1, 0
	s_cmp_lg_u64 s[20:21], 0
	v_add_co_u32 v11, vcc_lo, s20, v11
	s_cselect_b32 s7, -1, 0
	s_cmp_lg_u64 s[24:25], s[26:27]
	v_lshlrev_b64 v[9:10], 2, v[5:6]
	v_lshlrev_b64 v[13:14], 1, v[5:6]
	v_add_co_ci_u32_e32 v12, vcc_lo, s21, v12, vcc_lo
	s_cselect_b32 s12, -1, 0
	s_cmp_lg_u64 s[28:29], s[30:31]
	s_mov_b32 s14, 0
	s_cselect_b32 s13, -1, 0
	s_branch .LBB5_6
.LBB5_5:                                ;   in Loop: Header=BB5_6 Depth=1
	v_add_co_u32 v3, vcc_lo, v3, v5
	v_add_co_ci_u32_e32 v4, vcc_lo, 0, v4, vcc_lo
	v_add_co_u32 v7, vcc_lo, v7, v9
	v_add_co_ci_u32_e32 v8, vcc_lo, v8, v10, vcc_lo
	s_delay_alu instid0(VALU_DEP_3) | instskip(SKIP_1) | instid1(VALU_DEP_1)
	v_cmp_le_u64_e32 vcc_lo, s[8:9], v[3:4]
	v_add_co_u32 v11, s2, v11, v13
	v_add_co_ci_u32_e64 v12, s2, v12, v14, s2
	s_or_b32 s14, vcc_lo, s14
	s_delay_alu instid0(SALU_CYCLE_1)
	s_and_not1_b32 exec_lo, exec_lo, s14
	s_cbranch_execz .LBB5_14
.LBB5_6:                                ; =>This Inner Loop Header: Depth=1
	s_and_not1_b32 vcc_lo, exec_lo, s6
	s_cbranch_vccnz .LBB5_8
; %bb.7:                                ;   in Loop: Header=BB5_6 Depth=1
	v_add_co_u32 v15, vcc_lo, s16, v7
	v_add_co_ci_u32_e32 v16, vcc_lo, s17, v8, vcc_lo
	global_load_b32 v0, v[15:16], off
	v_add_co_u32 v15, vcc_lo, s18, v7
	v_add_co_ci_u32_e32 v16, vcc_lo, s19, v8, vcc_lo
	s_waitcnt vmcnt(0)
	global_store_b32 v[15:16], v0, off
.LBB5_8:                                ;   in Loop: Header=BB5_6 Depth=1
	s_and_not1_b32 vcc_lo, exec_lo, s7
	s_cbranch_vccnz .LBB5_10
; %bb.9:                                ;   in Loop: Header=BB5_6 Depth=1
	v_add_co_u32 v15, vcc_lo, s16, v7
	v_add_co_ci_u32_e32 v16, vcc_lo, s17, v8, vcc_lo
	global_load_b32 v0, v[15:16], off
	s_waitcnt vmcnt(0)
	v_cvt_f16_f32_e32 v0, v0
	global_store_b16 v[11:12], v0, off
.LBB5_10:                               ;   in Loop: Header=BB5_6 Depth=1
	s_and_not1_b32 vcc_lo, exec_lo, s12
	s_cbranch_vccnz .LBB5_12
; %bb.11:                               ;   in Loop: Header=BB5_6 Depth=1
	v_add_co_u32 v15, vcc_lo, s24, v7
	v_add_co_ci_u32_e32 v16, vcc_lo, s25, v8, vcc_lo
	global_load_b32 v0, v[15:16], off
	v_add_co_u32 v15, vcc_lo, s26, v7
	v_add_co_ci_u32_e32 v16, vcc_lo, s27, v8, vcc_lo
	s_waitcnt vmcnt(0)
	global_store_b32 v[15:16], v0, off
.LBB5_12:                               ;   in Loop: Header=BB5_6 Depth=1
	s_and_not1_b32 vcc_lo, exec_lo, s13
	s_cbranch_vccnz .LBB5_5
; %bb.13:                               ;   in Loop: Header=BB5_6 Depth=1
	v_add_co_u32 v15, vcc_lo, s28, v7
	v_add_co_ci_u32_e32 v16, vcc_lo, s29, v8, vcc_lo
	global_load_b32 v0, v[15:16], off
	v_add_co_u32 v15, vcc_lo, s30, v7
	v_add_co_ci_u32_e32 v16, vcc_lo, s31, v8, vcc_lo
	s_waitcnt vmcnt(0)
	global_store_b32 v[15:16], v0, off
	s_branch .LBB5_5
.LBB5_14:
	s_or_b32 exec_lo, exec_lo, s3
	s_mov_b32 s12, 0
.LBB5_15:
	s_delay_alu instid0(SALU_CYCLE_1)
	s_and_b32 vcc_lo, exec_lo, s12
	s_cbranch_vccz .LBB5_23
.LBB5_16:
	s_cmp_eq_u64 s[4:5], 0
	v_mov_b32_e32 v0, 1.0
	s_cselect_b32 s2, -1, 0
	s_delay_alu instid0(SALU_CYCLE_1)
	s_and_b32 vcc_lo, exec_lo, s2
	s_cbranch_vccnz .LBB5_18
; %bb.17:
	s_load_b32 s3, s[4:5], 0x0
	s_waitcnt lgkmcnt(0)
	v_cvt_f32_i32_e32 v0, s3
.LBB5_18:
	s_clause 0x1
	s_load_b128 s[4:7], s[0:1], 0x50
	s_load_b32 s1, s[0:1], 0x60
	v_lshlrev_b64 v[5:6], 1, v[1:2]
	v_lshlrev_b64 v[3:4], 2, v[1:2]
	s_mul_i32 s10, s11, s10
	s_mov_b32 s11, 0
	s_cmp_lg_u64 s[20:21], 0
	s_delay_alu instid0(VALU_DEP_2)
	v_add_co_u32 v5, vcc_lo, s20, v5
	v_add_co_ci_u32_e32 v6, vcc_lo, s21, v6, vcc_lo
	s_cselect_b32 s3, -1, 0
	s_lshl_b64 s[12:13], s[10:11], 1
	s_lshl_b64 s[14:15], s[10:11], 2
	s_waitcnt lgkmcnt(0)
	v_sub_f32_e64 v9, 1.0, s4
	v_sub_f32_e64 v10, 1.0, s5
	s_branch .LBB5_20
.LBB5_19:                               ;   in Loop: Header=BB5_20 Depth=1
	v_add_co_u32 v1, vcc_lo, v1, s10
	v_add_co_ci_u32_e32 v2, vcc_lo, 0, v2, vcc_lo
	v_add_co_u32 v5, vcc_lo, v5, s12
	v_add_co_ci_u32_e32 v6, vcc_lo, s13, v6, vcc_lo
	s_delay_alu instid0(VALU_DEP_3) | instskip(SKIP_1) | instid1(VALU_DEP_1)
	v_cmp_le_u64_e32 vcc_lo, s[8:9], v[1:2]
	v_add_co_u32 v3, s0, v3, s14
	v_add_co_ci_u32_e64 v4, s0, s15, v4, s0
	s_or_b32 s11, vcc_lo, s11
	s_delay_alu instid0(SALU_CYCLE_1)
	s_and_not1_b32 exec_lo, exec_lo, s11
	s_cbranch_execz .LBB5_23
.LBB5_20:                               ; =>This Inner Loop Header: Depth=1
	v_add_co_u32 v7, vcc_lo, s22, v3
	v_add_co_ci_u32_e32 v8, vcc_lo, s23, v4, vcc_lo
	global_load_b32 v11, v[7:8], off
	v_add_co_u32 v7, vcc_lo, s28, v3
	v_add_co_ci_u32_e32 v8, vcc_lo, s29, v4, vcc_lo
	global_load_b32 v12, v[7:8], off
	;; [unrolled: 3-line block ×4, first 2 shown]
	s_waitcnt vmcnt(3)
	v_div_scale_f32 v7, null, v0, v0, v11
	v_div_scale_f32 v16, vcc_lo, v11, v0, v11
	s_delay_alu instid0(VALU_DEP_2) | instskip(SKIP_2) | instid1(VALU_DEP_1)
	v_rcp_f32_e32 v8, v7
	s_waitcnt_depctr 0xfff
	v_fma_f32 v15, -v7, v8, 1.0
	v_fmac_f32_e32 v8, v15, v8
	s_delay_alu instid0(VALU_DEP_1) | instskip(NEXT) | instid1(VALU_DEP_1)
	v_mul_f32_e32 v15, v16, v8
	v_fma_f32 v17, -v7, v15, v16
	s_delay_alu instid0(VALU_DEP_1) | instskip(NEXT) | instid1(VALU_DEP_1)
	v_fmac_f32_e32 v15, v17, v8
	v_fma_f32 v7, -v7, v15, v16
	s_delay_alu instid0(VALU_DEP_1) | instskip(SKIP_2) | instid1(VALU_DEP_2)
	v_div_fmas_f32 v7, v7, v8, v15
	s_waitcnt vmcnt(2)
	v_mul_f32_e32 v15, s5, v12
	v_div_fixup_f32 v7, v7, v0, v11
	s_delay_alu instid0(VALU_DEP_1) | instskip(NEXT) | instid1(VALU_DEP_1)
	v_cndmask_b32_e64 v7, v7, v11, s2
	v_mul_f32_e32 v8, v7, v7
	s_delay_alu instid0(VALU_DEP_1) | instskip(NEXT) | instid1(VALU_DEP_1)
	v_fmac_f32_e32 v15, v10, v8
	v_cmp_gt_f32_e32 vcc_lo, 0xf800000, v15
	v_mul_f32_e32 v8, 0x4f800000, v15
	s_delay_alu instid0(VALU_DEP_1) | instskip(NEXT) | instid1(VALU_DEP_1)
	v_cndmask_b32_e32 v8, v15, v8, vcc_lo
	v_sqrt_f32_e32 v11, v8
	s_waitcnt_depctr 0xfff
	v_add_nc_u32_e32 v12, -1, v11
	v_add_nc_u32_e32 v16, 1, v11
	s_delay_alu instid0(VALU_DEP_2) | instskip(NEXT) | instid1(VALU_DEP_2)
	v_fma_f32 v17, -v12, v11, v8
	v_fma_f32 v18, -v16, v11, v8
	s_delay_alu instid0(VALU_DEP_2) | instskip(NEXT) | instid1(VALU_DEP_1)
	v_cmp_ge_f32_e64 s0, 0, v17
	v_cndmask_b32_e64 v11, v11, v12, s0
	s_delay_alu instid0(VALU_DEP_3) | instskip(NEXT) | instid1(VALU_DEP_1)
	v_cmp_lt_f32_e64 s0, 0, v18
	v_cndmask_b32_e64 v11, v11, v16, s0
	s_delay_alu instid0(VALU_DEP_1) | instskip(NEXT) | instid1(VALU_DEP_1)
	v_mul_f32_e32 v12, 0x37800000, v11
	v_cndmask_b32_e32 v11, v11, v12, vcc_lo
	v_cmp_class_f32_e64 vcc_lo, v8, 0x260
	s_waitcnt vmcnt(1)
	v_mul_f32_e32 v16, s4, v13
	s_delay_alu instid0(VALU_DEP_1) | instskip(NEXT) | instid1(VALU_DEP_1)
	v_dual_fmac_f32 v16, v9, v7 :: v_dual_cndmask_b32 v7, v11, v8
	v_dual_mul_f32 v8, s1, v16 :: v_dual_add_f32 v7, s6, v7
	s_delay_alu instid0(VALU_DEP_1) | instskip(SKIP_1) | instid1(VALU_DEP_2)
	v_div_scale_f32 v11, null, v7, v7, v8
	v_div_scale_f32 v17, vcc_lo, v8, v7, v8
	v_rcp_f32_e32 v12, v11
	s_waitcnt_depctr 0xfff
	v_fma_f32 v13, -v11, v12, 1.0
	s_delay_alu instid0(VALU_DEP_1) | instskip(NEXT) | instid1(VALU_DEP_1)
	v_fmac_f32_e32 v12, v13, v12
	v_mul_f32_e32 v13, v17, v12
	s_delay_alu instid0(VALU_DEP_1) | instskip(NEXT) | instid1(VALU_DEP_1)
	v_fma_f32 v18, -v11, v13, v17
	v_fmac_f32_e32 v13, v18, v12
	s_delay_alu instid0(VALU_DEP_1) | instskip(NEXT) | instid1(VALU_DEP_1)
	v_fma_f32 v11, -v11, v13, v17
	v_div_fmas_f32 v11, v11, v12, v13
	s_delay_alu instid0(VALU_DEP_1) | instskip(SKIP_3) | instid1(VALU_DEP_3)
	v_div_fixup_f32 v11, v11, v7, v8
	v_add_co_u32 v7, vcc_lo, s18, v3
	v_add_co_ci_u32_e32 v8, vcc_lo, s19, v4, vcc_lo
	s_waitcnt vmcnt(0)
	v_sub_f32_e32 v13, v14, v11
	v_add_co_u32 v11, vcc_lo, s26, v3
	v_add_co_ci_u32_e32 v12, vcc_lo, s27, v4, vcc_lo
	s_delay_alu instid0(VALU_DEP_3)
	v_fma_f32 v17, -v13, s7, v13
	v_add_co_u32 v13, vcc_lo, s30, v3
	v_add_co_ci_u32_e32 v14, vcc_lo, s31, v4, vcc_lo
	s_and_not1_b32 vcc_lo, exec_lo, s3
	global_store_b32 v[7:8], v17, off
	global_store_b32 v[11:12], v16, off
	global_store_b32 v[13:14], v15, off
	s_cbranch_vccnz .LBB5_19
; %bb.21:                               ;   in Loop: Header=BB5_20 Depth=1
	global_load_b32 v7, v[7:8], off
	s_waitcnt vmcnt(0)
	v_cvt_f16_f32_e32 v7, v7
	global_store_b16 v[5:6], v7, off
	s_branch .LBB5_19
.LBB5_22:
	s_cbranch_execnz .LBB5_16
.LBB5_23:
	s_nop 0
	s_sendmsg sendmsg(MSG_DEALLOC_VGPRS)
	s_endpgm
	.section	.rodata,"a",@progbits
	.p2align	6, 0x0
	.amdhsa_kernel TransformersAmpAdamWContiguous
		.amdhsa_group_segment_fixed_size 0
		.amdhsa_private_segment_fixed_size 0
		.amdhsa_kernarg_size 368
		.amdhsa_user_sgpr_count 15
		.amdhsa_user_sgpr_dispatch_ptr 0
		.amdhsa_user_sgpr_queue_ptr 0
		.amdhsa_user_sgpr_kernarg_segment_ptr 1
		.amdhsa_user_sgpr_dispatch_id 0
		.amdhsa_user_sgpr_private_segment_size 0
		.amdhsa_wavefront_size32 1
		.amdhsa_uses_dynamic_stack 0
		.amdhsa_enable_private_segment 0
		.amdhsa_system_sgpr_workgroup_id_x 1
		.amdhsa_system_sgpr_workgroup_id_y 0
		.amdhsa_system_sgpr_workgroup_id_z 0
		.amdhsa_system_sgpr_workgroup_info 0
		.amdhsa_system_vgpr_workitem_id 0
		.amdhsa_next_free_vgpr 19
		.amdhsa_next_free_sgpr 32
		.amdhsa_reserve_vcc 1
		.amdhsa_float_round_mode_32 0
		.amdhsa_float_round_mode_16_64 0
		.amdhsa_float_denorm_mode_32 3
		.amdhsa_float_denorm_mode_16_64 3
		.amdhsa_dx10_clamp 1
		.amdhsa_ieee_mode 1
		.amdhsa_fp16_overflow 0
		.amdhsa_workgroup_processor_mode 1
		.amdhsa_memory_ordered 1
		.amdhsa_forward_progress 0
		.amdhsa_shared_vgpr_count 0
		.amdhsa_exception_fp_ieee_invalid_op 0
		.amdhsa_exception_fp_denorm_src 0
		.amdhsa_exception_fp_ieee_div_zero 0
		.amdhsa_exception_fp_ieee_overflow 0
		.amdhsa_exception_fp_ieee_underflow 0
		.amdhsa_exception_fp_ieee_inexact 0
		.amdhsa_exception_int_div_zero 0
	.end_amdhsa_kernel
	.text
.Lfunc_end5:
	.size	TransformersAmpAdamWContiguous, .Lfunc_end5-TransformersAmpAdamWContiguous
                                        ; -- End function
	.section	.AMDGPU.csdata,"",@progbits
; Kernel info:
; codeLenInByte = 1396
; NumSgprs: 34
; NumVgprs: 19
; ScratchSize: 0
; MemoryBound: 0
; FloatMode: 240
; IeeeMode: 1
; LDSByteSize: 0 bytes/workgroup (compile time only)
; SGPRBlocks: 4
; VGPRBlocks: 2
; NumSGPRsForWavesPerEU: 34
; NumVGPRsForWavesPerEU: 19
; Occupancy: 16
; WaveLimiterHint : 0
; COMPUTE_PGM_RSRC2:SCRATCH_EN: 0
; COMPUTE_PGM_RSRC2:USER_SGPR: 15
; COMPUTE_PGM_RSRC2:TRAP_HANDLER: 0
; COMPUTE_PGM_RSRC2:TGID_X_EN: 1
; COMPUTE_PGM_RSRC2:TGID_Y_EN: 0
; COMPUTE_PGM_RSRC2:TGID_Z_EN: 0
; COMPUTE_PGM_RSRC2:TIDIG_COMP_CNT: 0
	.text
	.protected	TransformersAmpAdamWContiguousWithStep ; -- Begin function TransformersAmpAdamWContiguousWithStep
	.globl	TransformersAmpAdamWContiguousWithStep
	.p2align	8
	.type	TransformersAmpAdamWContiguousWithStep,@function
TransformersAmpAdamWContiguousWithStep: ; @TransformersAmpAdamWContiguousWithStep
; %bb.0:
	s_clause 0x1
	s_load_b32 s4, s[0:1], 0x8c
	s_load_b64 s[34:35], s[0:1], 0x78
	s_add_u32 s2, s0, 0x80
	s_addc_u32 s3, s1, 0
	s_waitcnt lgkmcnt(0)
	s_and_b32 s33, s4, 0xffff
	s_mov_b32 s4, exec_lo
	v_mad_u64_u32 v[1:2], null, s15, s33, v[0:1]
	v_mov_b32_e32 v2, 0
	s_delay_alu instid0(VALU_DEP_1)
	v_cmpx_gt_u64_e64 s[34:35], v[1:2]
	s_cbranch_execz .LBB6_26
; %bb.1:
	s_clause 0x1
	s_load_b128 s[4:7], s[0:1], 0x40
	s_load_b512 s[16:31], s[0:1], 0x0
	s_load_b32 s88, s[2:3], 0x0
	s_waitcnt lgkmcnt(0)
	s_cmp_eq_u64 s[6:7], 0
	s_cselect_b32 s8, -1, 0
	s_delay_alu instid0(SALU_CYCLE_1)
	s_and_b32 vcc_lo, exec_lo, s8
	s_cbranch_vccnz .LBB6_15
; %bb.2:
	v_mov_b32_e32 v4, 0
	global_load_u8 v3, v4, s[6:7]
	s_waitcnt vmcnt(0)
	v_cmp_ne_u16_e32 vcc_lo, 0, v3
	s_cbranch_vccz .LBB6_25
; %bb.3:
	s_cmp_lt_u32 s15, s88
	s_cselect_b32 s6, 12, 18
	s_delay_alu instid0(SALU_CYCLE_1)
	s_add_u32 s2, s2, s6
	s_addc_u32 s3, s3, 0
	global_load_u16 v5, v4, s[2:3]
	s_mov_b32 s3, exec_lo
	s_waitcnt vmcnt(0)
	v_mad_u64_u32 v[6:7], null, s15, v5, v[0:1]
	s_delay_alu instid0(VALU_DEP_1) | instskip(NEXT) | instid1(VALU_DEP_1)
	v_mov_b32_e32 v3, v6
	v_cmpx_gt_u64_e64 s[34:35], v[3:4]
	s_cbranch_execz .LBB6_14
; %bb.4:
	v_mul_lo_u32 v5, s88, v5
	v_lshlrev_b64 v[11:12], 1, v[3:4]
	v_mov_b32_e32 v6, 0
	s_cmp_lg_u64 s[16:17], s[18:19]
	v_lshlrev_b64 v[7:8], 2, v[3:4]
	s_cselect_b32 s6, -1, 0
	s_cmp_lg_u64 s[20:21], 0
	v_add_co_u32 v11, vcc_lo, s20, v11
	s_cselect_b32 s7, -1, 0
	s_cmp_lg_u64 s[24:25], s[26:27]
	v_lshlrev_b64 v[9:10], 2, v[5:6]
	v_lshlrev_b64 v[13:14], 1, v[5:6]
	v_add_co_ci_u32_e32 v12, vcc_lo, s21, v12, vcc_lo
	s_cselect_b32 s8, -1, 0
	s_cmp_lg_u64 s[28:29], s[30:31]
	s_mov_b32 s10, 0
	s_cselect_b32 s9, -1, 0
	s_branch .LBB6_6
.LBB6_5:                                ;   in Loop: Header=BB6_6 Depth=1
	v_add_co_u32 v3, vcc_lo, v3, v5
	v_add_co_ci_u32_e32 v4, vcc_lo, 0, v4, vcc_lo
	v_add_co_u32 v7, vcc_lo, v7, v9
	v_add_co_ci_u32_e32 v8, vcc_lo, v8, v10, vcc_lo
	s_delay_alu instid0(VALU_DEP_3) | instskip(SKIP_1) | instid1(VALU_DEP_1)
	v_cmp_le_u64_e32 vcc_lo, s[34:35], v[3:4]
	v_add_co_u32 v11, s2, v11, v13
	v_add_co_ci_u32_e64 v12, s2, v12, v14, s2
	s_or_b32 s10, vcc_lo, s10
	s_delay_alu instid0(SALU_CYCLE_1)
	s_and_not1_b32 exec_lo, exec_lo, s10
	s_cbranch_execz .LBB6_14
.LBB6_6:                                ; =>This Inner Loop Header: Depth=1
	s_and_not1_b32 vcc_lo, exec_lo, s6
	s_cbranch_vccnz .LBB6_8
; %bb.7:                                ;   in Loop: Header=BB6_6 Depth=1
	v_add_co_u32 v15, vcc_lo, s16, v7
	v_add_co_ci_u32_e32 v16, vcc_lo, s17, v8, vcc_lo
	global_load_b32 v0, v[15:16], off
	v_add_co_u32 v15, vcc_lo, s18, v7
	v_add_co_ci_u32_e32 v16, vcc_lo, s19, v8, vcc_lo
	s_waitcnt vmcnt(0)
	global_store_b32 v[15:16], v0, off
.LBB6_8:                                ;   in Loop: Header=BB6_6 Depth=1
	s_and_not1_b32 vcc_lo, exec_lo, s7
	s_cbranch_vccnz .LBB6_10
; %bb.9:                                ;   in Loop: Header=BB6_6 Depth=1
	v_add_co_u32 v15, vcc_lo, s16, v7
	v_add_co_ci_u32_e32 v16, vcc_lo, s17, v8, vcc_lo
	global_load_b32 v0, v[15:16], off
	s_waitcnt vmcnt(0)
	v_cvt_f16_f32_e32 v0, v0
	global_store_b16 v[11:12], v0, off
.LBB6_10:                               ;   in Loop: Header=BB6_6 Depth=1
	s_and_not1_b32 vcc_lo, exec_lo, s8
	s_cbranch_vccnz .LBB6_12
; %bb.11:                               ;   in Loop: Header=BB6_6 Depth=1
	v_add_co_u32 v15, vcc_lo, s24, v7
	v_add_co_ci_u32_e32 v16, vcc_lo, s25, v8, vcc_lo
	global_load_b32 v0, v[15:16], off
	v_add_co_u32 v15, vcc_lo, s26, v7
	v_add_co_ci_u32_e32 v16, vcc_lo, s27, v8, vcc_lo
	s_waitcnt vmcnt(0)
	global_store_b32 v[15:16], v0, off
.LBB6_12:                               ;   in Loop: Header=BB6_6 Depth=1
	s_and_not1_b32 vcc_lo, exec_lo, s9
	s_cbranch_vccnz .LBB6_5
; %bb.13:                               ;   in Loop: Header=BB6_6 Depth=1
	v_add_co_u32 v15, vcc_lo, s28, v7
	v_add_co_ci_u32_e32 v16, vcc_lo, s29, v8, vcc_lo
	global_load_b32 v0, v[15:16], off
	v_add_co_u32 v15, vcc_lo, s30, v7
	v_add_co_ci_u32_e32 v16, vcc_lo, s31, v8, vcc_lo
	s_waitcnt vmcnt(0)
	global_store_b32 v[15:16], v0, off
	s_branch .LBB6_5
.LBB6_14:
	s_or_b32 exec_lo, exec_lo, s3
	s_mov_b32 s8, 0
.LBB6_15:
	s_delay_alu instid0(SALU_CYCLE_1)
	s_and_b32 vcc_lo, exec_lo, s8
	s_cbranch_vccz .LBB6_26
.LBB6_16:
	s_load_b64 s[6:7], s[0:1], 0x50
	s_cmp_eq_u64 s[4:5], 0
	v_mov_b32_e32 v0, 1.0
	s_cselect_b32 s2, -1, 0
	s_delay_alu instid0(SALU_CYCLE_1)
	s_and_b32 vcc_lo, exec_lo, s2
	s_cbranch_vccnz .LBB6_18
; %bb.17:
	s_load_b32 s3, s[4:5], 0x0
	s_waitcnt lgkmcnt(0)
	v_cvt_f32_i32_e32 v0, s3
.LBB6_18:
	s_load_b256 s[8:15], s[0:1], 0x58
	s_mov_b32 s5, 0
	s_waitcnt lgkmcnt(0)
	v_cmp_lt_f32_e64 s0, s13, 0
	s_bitcmp1_b32 s14, 0
	s_cselect_b32 s1, -1, 0
	s_delay_alu instid0(VALU_DEP_1) | instid1(SALU_CYCLE_1)
	s_and_b32 s1, s0, s1
	s_delay_alu instid0(SALU_CYCLE_1)
	s_and_not1_b32 vcc_lo, exec_lo, s1
	s_cbranch_vccnz .LBB6_20
; %bb.19:
	s_load_b32 s0, s[6:7], 0x0
	v_cmp_neq_f32_e64 vcc_lo, s9, 1.0
	v_cvt_f64_f32_e32 v[3:4], s9
	s_mov_b32 s6, 0x55555555
	s_mov_b32 s7, 0x3fe55555
	;; [unrolled: 1-line block ×17, first 2 shown]
	s_waitcnt lgkmcnt(0)
	s_add_i32 s0, s0, 1
	s_mov_b32 s50, 0x924920da
	v_cvt_f64_u32_e32 v[7:8], s0
	s_mov_b32 s51, 0x3fd24924
	s_mov_b32 s52, 0x9999999c
	;; [unrolled: 1-line block ×37, first 2 shown]
	v_cndmask_b32_e32 v6, 0x3ff00000, v8, vcc_lo
	v_cndmask_b32_e32 v5, 0, v7, vcc_lo
	v_cmp_neq_f32_e64 s3, s10, 1.0
	s_delay_alu instid0(VALU_DEP_2) | instskip(NEXT) | instid1(VALU_DEP_2)
	v_cmp_neq_f64_e32 vcc_lo, 0, v[5:6]
	v_cndmask_b32_e64 v8, 0x3ff00000, v8, s3
	v_cndmask_b32_e64 v7, 0, v7, s3
	s_delay_alu instid0(VALU_DEP_1) | instskip(SKIP_2) | instid1(VALU_DEP_1)
	v_cmp_neq_f64_e64 s3, 0, v[7:8]
	v_cndmask_b32_e32 v4, 0x3ff00000, v4, vcc_lo
	v_cndmask_b32_e32 v3, 0, v3, vcc_lo
	v_frexp_mant_f64_e64 v[9:10], |v[3:4]|
	v_frexp_exp_i32_f64_e32 v11, v[3:4]
	s_delay_alu instid0(VALU_DEP_2) | instskip(SKIP_2) | instid1(VALU_DEP_2)
	v_cmp_gt_f64_e32 vcc_lo, s[6:7], v[9:10]
	s_and_b32 s0, vcc_lo, exec_lo
	s_cselect_b32 s15, 2.0, 0x3ff00000
	v_subrev_co_ci_u32_e64 v29, s0, 0, v11, vcc_lo
	v_mul_f64 v[9:10], v[9:10], s[14:15]
	s_delay_alu instid0(VALU_DEP_1) | instskip(SKIP_1) | instid1(VALU_DEP_2)
	v_add_f64 v[11:12], v[9:10], 1.0
	v_add_f64 v[17:18], v[9:10], -1.0
	v_rcp_f64_e32 v[13:14], v[11:12]
	v_add_f64 v[19:20], v[11:12], -1.0
	s_delay_alu instid0(VALU_DEP_1) | instskip(SKIP_2) | instid1(VALU_DEP_1)
	v_add_f64 v[9:10], v[9:10], -v[19:20]
	s_waitcnt_depctr 0xfff
	v_fma_f64 v[15:16], -v[11:12], v[13:14], 1.0
	v_fma_f64 v[13:14], v[15:16], v[13:14], v[13:14]
	s_delay_alu instid0(VALU_DEP_1) | instskip(NEXT) | instid1(VALU_DEP_1)
	v_fma_f64 v[15:16], -v[11:12], v[13:14], 1.0
	v_fma_f64 v[13:14], v[15:16], v[13:14], v[13:14]
	s_delay_alu instid0(VALU_DEP_1) | instskip(NEXT) | instid1(VALU_DEP_1)
	v_mul_f64 v[15:16], v[17:18], v[13:14]
	v_mul_f64 v[21:22], v[11:12], v[15:16]
	s_delay_alu instid0(VALU_DEP_1) | instskip(NEXT) | instid1(VALU_DEP_1)
	v_fma_f64 v[11:12], v[15:16], v[11:12], -v[21:22]
	v_fma_f64 v[9:10], v[15:16], v[9:10], v[11:12]
	s_delay_alu instid0(VALU_DEP_1) | instskip(NEXT) | instid1(VALU_DEP_1)
	v_add_f64 v[11:12], v[21:22], v[9:10]
	v_add_f64 v[19:20], v[17:18], -v[11:12]
	v_add_f64 v[21:22], v[11:12], -v[21:22]
	s_delay_alu instid0(VALU_DEP_2) | instskip(NEXT) | instid1(VALU_DEP_2)
	v_add_f64 v[17:18], v[17:18], -v[19:20]
	v_add_f64 v[9:10], v[21:22], -v[9:10]
	s_delay_alu instid0(VALU_DEP_2) | instskip(NEXT) | instid1(VALU_DEP_1)
	v_add_f64 v[11:12], v[17:18], -v[11:12]
	v_add_f64 v[9:10], v[9:10], v[11:12]
	s_delay_alu instid0(VALU_DEP_1) | instskip(NEXT) | instid1(VALU_DEP_1)
	v_add_f64 v[9:10], v[19:20], v[9:10]
	v_mul_f64 v[9:10], v[13:14], v[9:10]
	s_delay_alu instid0(VALU_DEP_1) | instskip(NEXT) | instid1(VALU_DEP_1)
	v_add_f64 v[11:12], v[15:16], v[9:10]
	v_add_f64 v[13:14], v[11:12], -v[15:16]
	v_mul_f64 v[15:16], v[11:12], v[11:12]
	s_delay_alu instid0(VALU_DEP_2) | instskip(NEXT) | instid1(VALU_DEP_2)
	v_add_f64 v[9:10], v[9:10], -v[13:14]
	v_fma_f64 v[13:14], v[11:12], v[11:12], -v[15:16]
	s_delay_alu instid0(VALU_DEP_2) | instskip(NEXT) | instid1(VALU_DEP_1)
	v_add_f64 v[17:18], v[9:10], v[9:10]
	v_fma_f64 v[13:14], v[11:12], v[17:18], v[13:14]
	s_delay_alu instid0(VALU_DEP_1) | instskip(NEXT) | instid1(VALU_DEP_1)
	v_add_f64 v[17:18], v[15:16], v[13:14]
	v_fma_f64 v[19:20], v[17:18], s[38:39], s[36:37]
	v_add_f64 v[15:16], v[17:18], -v[15:16]
	v_mul_f64 v[25:26], v[11:12], v[17:18]
	s_delay_alu instid0(VALU_DEP_3) | instskip(NEXT) | instid1(VALU_DEP_3)
	v_fma_f64 v[19:20], v[17:18], v[19:20], s[40:41]
	v_add_f64 v[13:14], v[13:14], -v[15:16]
	s_delay_alu instid0(VALU_DEP_2) | instskip(NEXT) | instid1(VALU_DEP_1)
	v_fma_f64 v[19:20], v[17:18], v[19:20], s[42:43]
	v_fma_f64 v[19:20], v[17:18], v[19:20], s[44:45]
	s_delay_alu instid0(VALU_DEP_1) | instskip(NEXT) | instid1(VALU_DEP_1)
	v_fma_f64 v[19:20], v[17:18], v[19:20], s[46:47]
	v_fma_f64 v[19:20], v[17:18], v[19:20], s[48:49]
	s_delay_alu instid0(VALU_DEP_1) | instskip(NEXT) | instid1(VALU_DEP_1)
	;; [unrolled: 3-line block ×3, first 2 shown]
	v_mul_f64 v[21:22], v[17:18], v[19:20]
	v_fma_f64 v[15:16], v[17:18], v[19:20], -v[21:22]
	s_delay_alu instid0(VALU_DEP_1) | instskip(NEXT) | instid1(VALU_DEP_1)
	v_fma_f64 v[15:16], v[13:14], v[19:20], v[15:16]
	v_add_f64 v[19:20], v[21:22], v[15:16]
	s_delay_alu instid0(VALU_DEP_1) | instskip(SKIP_1) | instid1(VALU_DEP_2)
	v_add_f64 v[23:24], v[19:20], s[6:7]
	v_add_f64 v[21:22], v[19:20], -v[21:22]
	v_add_f64 v[27:28], v[23:24], s[54:55]
	s_delay_alu instid0(VALU_DEP_2) | instskip(SKIP_1) | instid1(VALU_DEP_3)
	v_add_f64 v[15:16], v[15:16], -v[21:22]
	v_fma_f64 v[21:22], v[17:18], v[11:12], -v[25:26]
	v_add_f64 v[19:20], v[19:20], -v[27:28]
	s_delay_alu instid0(VALU_DEP_3) | instskip(NEXT) | instid1(VALU_DEP_3)
	v_add_f64 v[15:16], v[15:16], s[56:57]
	v_fma_f64 v[17:18], v[17:18], v[9:10], v[21:22]
	v_ldexp_f64 v[9:10], v[9:10], 1
	s_delay_alu instid0(VALU_DEP_3) | instskip(NEXT) | instid1(VALU_DEP_3)
	v_add_f64 v[15:16], v[15:16], v[19:20]
	v_fma_f64 v[13:14], v[13:14], v[11:12], v[17:18]
	v_ldexp_f64 v[11:12], v[11:12], 1
	s_delay_alu instid0(VALU_DEP_3) | instskip(NEXT) | instid1(VALU_DEP_3)
	v_add_f64 v[17:18], v[23:24], v[15:16]
	v_add_f64 v[19:20], v[25:26], v[13:14]
	s_delay_alu instid0(VALU_DEP_2) | instskip(NEXT) | instid1(VALU_DEP_2)
	v_add_f64 v[21:22], v[23:24], -v[17:18]
	v_mul_f64 v[23:24], v[19:20], v[17:18]
	v_add_f64 v[25:26], v[19:20], -v[25:26]
	s_delay_alu instid0(VALU_DEP_3) | instskip(NEXT) | instid1(VALU_DEP_3)
	v_add_f64 v[15:16], v[15:16], v[21:22]
	v_fma_f64 v[21:22], v[19:20], v[17:18], -v[23:24]
	s_delay_alu instid0(VALU_DEP_3) | instskip(NEXT) | instid1(VALU_DEP_2)
	v_add_f64 v[13:14], v[13:14], -v[25:26]
	v_fma_f64 v[15:16], v[19:20], v[15:16], v[21:22]
	s_delay_alu instid0(VALU_DEP_1) | instskip(SKIP_1) | instid1(VALU_DEP_2)
	v_fma_f64 v[13:14], v[13:14], v[17:18], v[15:16]
	v_cvt_f64_i32_e32 v[17:18], v29
	v_add_f64 v[15:16], v[23:24], v[13:14]
	s_delay_alu instid0(VALU_DEP_1) | instskip(SKIP_1) | instid1(VALU_DEP_4)
	v_add_f64 v[19:20], v[11:12], v[15:16]
	v_add_f64 v[21:22], v[15:16], -v[23:24]
	v_mul_f64 v[23:24], v[17:18], s[58:59]
	s_delay_alu instid0(VALU_DEP_3) | instskip(NEXT) | instid1(VALU_DEP_3)
	v_add_f64 v[11:12], v[19:20], -v[11:12]
	v_add_f64 v[13:14], v[13:14], -v[21:22]
	s_delay_alu instid0(VALU_DEP_3) | instskip(NEXT) | instid1(VALU_DEP_3)
	v_fma_f64 v[21:22], v[17:18], s[58:59], -v[23:24]
	v_add_f64 v[11:12], v[15:16], -v[11:12]
	s_delay_alu instid0(VALU_DEP_3) | instskip(NEXT) | instid1(VALU_DEP_3)
	v_add_f64 v[9:10], v[9:10], v[13:14]
	v_fma_f64 v[13:14], v[17:18], s[62:63], v[21:22]
	s_delay_alu instid0(VALU_DEP_2) | instskip(NEXT) | instid1(VALU_DEP_2)
	v_add_f64 v[9:10], v[9:10], v[11:12]
	v_add_f64 v[11:12], v[23:24], v[13:14]
	s_delay_alu instid0(VALU_DEP_2) | instskip(NEXT) | instid1(VALU_DEP_2)
	v_add_f64 v[15:16], v[19:20], v[9:10]
	v_add_f64 v[23:24], v[11:12], -v[23:24]
	s_delay_alu instid0(VALU_DEP_2) | instskip(SKIP_1) | instid1(VALU_DEP_3)
	v_add_f64 v[17:18], v[11:12], v[15:16]
	v_add_f64 v[19:20], v[15:16], -v[19:20]
	v_add_f64 v[13:14], v[13:14], -v[23:24]
	s_delay_alu instid0(VALU_DEP_3) | instskip(NEXT) | instid1(VALU_DEP_3)
	v_add_f64 v[21:22], v[17:18], -v[11:12]
	v_add_f64 v[9:10], v[9:10], -v[19:20]
	s_delay_alu instid0(VALU_DEP_2) | instskip(SKIP_1) | instid1(VALU_DEP_3)
	v_add_f64 v[25:26], v[17:18], -v[21:22]
	v_add_f64 v[15:16], v[15:16], -v[21:22]
	v_add_f64 v[19:20], v[13:14], v[9:10]
	s_delay_alu instid0(VALU_DEP_3) | instskip(NEXT) | instid1(VALU_DEP_1)
	v_add_f64 v[11:12], v[11:12], -v[25:26]
	v_add_f64 v[11:12], v[15:16], v[11:12]
	s_delay_alu instid0(VALU_DEP_3) | instskip(NEXT) | instid1(VALU_DEP_2)
	v_add_f64 v[15:16], v[19:20], -v[13:14]
	v_add_f64 v[11:12], v[19:20], v[11:12]
	s_delay_alu instid0(VALU_DEP_2) | instskip(SKIP_1) | instid1(VALU_DEP_3)
	v_add_f64 v[19:20], v[19:20], -v[15:16]
	v_add_f64 v[9:10], v[9:10], -v[15:16]
	v_add_f64 v[21:22], v[17:18], v[11:12]
	s_delay_alu instid0(VALU_DEP_3) | instskip(NEXT) | instid1(VALU_DEP_2)
	v_add_f64 v[13:14], v[13:14], -v[19:20]
	v_add_f64 v[15:16], v[21:22], -v[17:18]
	s_delay_alu instid0(VALU_DEP_2) | instskip(NEXT) | instid1(VALU_DEP_2)
	v_add_f64 v[9:10], v[9:10], v[13:14]
	v_add_f64 v[11:12], v[11:12], -v[15:16]
	s_delay_alu instid0(VALU_DEP_1) | instskip(NEXT) | instid1(VALU_DEP_1)
	v_add_f64 v[9:10], v[9:10], v[11:12]
	v_add_f64 v[11:12], v[21:22], v[9:10]
	s_delay_alu instid0(VALU_DEP_1) | instskip(SKIP_1) | instid1(VALU_DEP_2)
	v_add_f64 v[13:14], v[11:12], -v[21:22]
	v_mul_f64 v[15:16], v[5:6], v[11:12]
	v_add_f64 v[9:10], v[9:10], -v[13:14]
	s_delay_alu instid0(VALU_DEP_2) | instskip(SKIP_1) | instid1(VALU_DEP_2)
	v_fma_f64 v[11:12], v[5:6], v[11:12], -v[15:16]
	v_cmp_class_f64_e64 vcc_lo, v[15:16], 0x204
	v_fma_f64 v[9:10], v[5:6], v[9:10], v[11:12]
	s_delay_alu instid0(VALU_DEP_1) | instskip(NEXT) | instid1(VALU_DEP_1)
	v_add_f64 v[11:12], v[15:16], v[9:10]
	v_dual_cndmask_b32 v14, v12, v16 :: v_dual_cndmask_b32 v13, v11, v15
	v_add_f64 v[11:12], v[11:12], -v[15:16]
	s_delay_alu instid0(VALU_DEP_2)
	v_mul_f64 v[17:18], v[13:14], s[60:61]
	v_cmp_lt_f64_e32 vcc_lo, 0x40900000, v[13:14]
	v_cmp_neq_f64_e64 s0, 0x7ff00000, |v[13:14]|
	v_cmp_ngt_f64_e64 s1, 0xc090cc00, v[13:14]
	v_add_f64 v[9:10], v[9:10], -v[11:12]
	v_mul_f64 v[11:12], v[5:6], 0.5
	v_rndne_f64_e32 v[17:18], v[17:18]
	s_delay_alu instid0(VALU_DEP_3) | instskip(NEXT) | instid1(VALU_DEP_4)
	v_cndmask_b32_e64 v10, 0, v10, s0
	v_cndmask_b32_e64 v9, 0, v9, s0
	s_delay_alu instid0(VALU_DEP_3) | instskip(SKIP_1) | instid1(VALU_DEP_2)
	v_fma_f64 v[19:20], v[17:18], s[64:65], v[13:14]
	v_cvt_i32_f64_e32 v23, v[17:18]
	v_fma_f64 v[19:20], v[17:18], s[66:67], v[19:20]
	s_delay_alu instid0(VALU_DEP_1) | instskip(NEXT) | instid1(VALU_DEP_1)
	v_fma_f64 v[21:22], v[19:20], s[70:71], s[68:69]
	v_fma_f64 v[21:22], v[19:20], v[21:22], s[72:73]
	s_delay_alu instid0(VALU_DEP_1) | instskip(NEXT) | instid1(VALU_DEP_1)
	v_fma_f64 v[21:22], v[19:20], v[21:22], s[74:75]
	;; [unrolled: 3-line block ×5, first 2 shown]
	v_fma_f64 v[21:22], v[19:20], v[21:22], 1.0
	s_delay_alu instid0(VALU_DEP_1) | instskip(SKIP_1) | instid1(VALU_DEP_2)
	v_fma_f64 v[17:18], v[19:20], v[21:22], 1.0
	v_cvt_f64_f32_e32 v[19:20], s10
	v_ldexp_f64 v[15:16], v[17:18], v23
	s_delay_alu instid0(VALU_DEP_1) | instskip(SKIP_1) | instid1(VALU_DEP_3)
	v_cndmask_b32_e64 v18, v16, 0x7ff00000, vcc_lo
	v_and_b32_e32 v16, 0x7fffffff, v16
	v_cndmask_b32_e64 v17, v15, 0, vcc_lo
	v_cmp_class_f64_e64 s13, v[3:4], 0x204
	s_delay_alu instid0(VALU_DEP_4) | instskip(NEXT) | instid1(VALU_DEP_4)
	v_cndmask_b32_e64 v14, 0, v18, s1
	v_cmp_eq_f64_e64 s0, 0x7ff00000, v[15:16]
	s_delay_alu instid0(VALU_DEP_4) | instskip(SKIP_2) | instid1(VALU_DEP_3)
	v_cndmask_b32_e64 v13, 0, v17, s1
	v_trunc_f64_e32 v[15:16], v[11:12]
	v_trunc_f64_e32 v[17:18], v[5:6]
	v_fma_f64 v[9:10], v[13:14], v[9:10], v[13:14]
	s_or_b32 s0, vcc_lo, s0
	s_delay_alu instid0(VALU_DEP_3) | instskip(SKIP_1) | instid1(VALU_DEP_3)
	v_cmp_neq_f64_e32 vcc_lo, v[15:16], v[11:12]
	s_and_b32 s0, s1, s0
	v_cmp_eq_f64_e64 s1, v[17:18], v[5:6]
	v_cndmask_b32_e64 v6, 0x3ff00000, v20, s3
	v_cndmask_b32_e64 v5, 0, v19, s3
	v_cndmask_b32_e64 v10, v10, v14, s0
	v_cndmask_b32_e64 v9, v9, v13, s0
	v_cmp_gt_f64_e64 s0, 0, v[3:4]
	s_delay_alu instid0(VALU_DEP_4) | instskip(SKIP_1) | instid1(VALU_DEP_3)
	v_frexp_mant_f64_e64 v[11:12], |v[5:6]|
	s_and_b32 vcc_lo, s1, vcc_lo
	v_cndmask_b32_e64 v13, 0, v9, s1
	v_cndmask_b32_e32 v14, 0x3ff00000, v4, vcc_lo
	s_delay_alu instid0(VALU_DEP_2) | instskip(NEXT) | instid1(VALU_DEP_2)
	v_cndmask_b32_e64 v31, v9, v13, s0
	v_bfi_b32 v10, 0x7fffffff, v10, v14
	v_cmp_gt_f64_e64 s3, s[6:7], v[11:12]
	v_frexp_exp_i32_f64_e32 v14, v[5:6]
	s_delay_alu instid0(VALU_DEP_3) | instskip(SKIP_1) | instid1(VALU_DEP_2)
	v_cndmask_b32_e64 v15, 0x7ff80000, v10, s1
	v_cmp_eq_f64_e64 s1, 0, v[3:4]
	v_cndmask_b32_e64 v30, v10, v15, s0
	s_delay_alu instid0(VALU_DEP_4) | instskip(NEXT) | instid1(VALU_DEP_3)
	v_subrev_co_ci_u32_e64 v29, s4, 0, v14, s3
	s_or_b32 s0, s13, s1
	s_and_b32 s1, s1, exec_lo
	s_cselect_b32 s13, 0, 0x7ff00000
	s_and_b32 s1, s3, exec_lo
	s_cselect_b32 s15, 2.0, 0x3ff00000
	s_delay_alu instid0(SALU_CYCLE_1) | instskip(NEXT) | instid1(VALU_DEP_1)
	v_mul_f64 v[9:10], v[11:12], s[14:15]
	v_add_f64 v[11:12], v[9:10], 1.0
	v_add_f64 v[17:18], v[9:10], -1.0
	s_delay_alu instid0(VALU_DEP_2) | instskip(SKIP_1) | instid1(VALU_DEP_1)
	v_rcp_f64_e32 v[13:14], v[11:12]
	v_add_f64 v[19:20], v[11:12], -1.0
	v_add_f64 v[9:10], v[9:10], -v[19:20]
	s_waitcnt_depctr 0xfff
	v_fma_f64 v[15:16], -v[11:12], v[13:14], 1.0
	s_delay_alu instid0(VALU_DEP_1) | instskip(NEXT) | instid1(VALU_DEP_1)
	v_fma_f64 v[13:14], v[15:16], v[13:14], v[13:14]
	v_fma_f64 v[15:16], -v[11:12], v[13:14], 1.0
	s_delay_alu instid0(VALU_DEP_1) | instskip(NEXT) | instid1(VALU_DEP_1)
	v_fma_f64 v[13:14], v[15:16], v[13:14], v[13:14]
	v_mul_f64 v[15:16], v[17:18], v[13:14]
	s_delay_alu instid0(VALU_DEP_1) | instskip(NEXT) | instid1(VALU_DEP_1)
	v_mul_f64 v[21:22], v[11:12], v[15:16]
	v_fma_f64 v[11:12], v[15:16], v[11:12], -v[21:22]
	s_delay_alu instid0(VALU_DEP_1) | instskip(NEXT) | instid1(VALU_DEP_1)
	v_fma_f64 v[9:10], v[15:16], v[9:10], v[11:12]
	v_add_f64 v[11:12], v[21:22], v[9:10]
	s_delay_alu instid0(VALU_DEP_1) | instskip(SKIP_1) | instid1(VALU_DEP_2)
	v_add_f64 v[19:20], v[17:18], -v[11:12]
	v_add_f64 v[21:22], v[11:12], -v[21:22]
	;; [unrolled: 1-line block ×3, first 2 shown]
	s_delay_alu instid0(VALU_DEP_2) | instskip(NEXT) | instid1(VALU_DEP_2)
	v_add_f64 v[9:10], v[21:22], -v[9:10]
	v_add_f64 v[11:12], v[17:18], -v[11:12]
	s_delay_alu instid0(VALU_DEP_1) | instskip(NEXT) | instid1(VALU_DEP_1)
	v_add_f64 v[9:10], v[9:10], v[11:12]
	v_add_f64 v[9:10], v[19:20], v[9:10]
	s_delay_alu instid0(VALU_DEP_1) | instskip(NEXT) | instid1(VALU_DEP_1)
	v_mul_f64 v[9:10], v[13:14], v[9:10]
	v_add_f64 v[11:12], v[15:16], v[9:10]
	s_delay_alu instid0(VALU_DEP_1) | instskip(SKIP_1) | instid1(VALU_DEP_2)
	v_add_f64 v[13:14], v[11:12], -v[15:16]
	v_mul_f64 v[15:16], v[11:12], v[11:12]
	v_add_f64 v[9:10], v[9:10], -v[13:14]
	s_delay_alu instid0(VALU_DEP_2) | instskip(NEXT) | instid1(VALU_DEP_2)
	v_fma_f64 v[13:14], v[11:12], v[11:12], -v[15:16]
	v_add_f64 v[17:18], v[9:10], v[9:10]
	s_delay_alu instid0(VALU_DEP_1) | instskip(NEXT) | instid1(VALU_DEP_1)
	v_fma_f64 v[13:14], v[11:12], v[17:18], v[13:14]
	v_add_f64 v[17:18], v[15:16], v[13:14]
	s_delay_alu instid0(VALU_DEP_1) | instskip(SKIP_2) | instid1(VALU_DEP_3)
	v_fma_f64 v[19:20], v[17:18], s[38:39], s[36:37]
	v_add_f64 v[15:16], v[17:18], -v[15:16]
	v_mul_f64 v[25:26], v[11:12], v[17:18]
	v_fma_f64 v[19:20], v[17:18], v[19:20], s[40:41]
	s_delay_alu instid0(VALU_DEP_3) | instskip(NEXT) | instid1(VALU_DEP_2)
	v_add_f64 v[13:14], v[13:14], -v[15:16]
	v_fma_f64 v[19:20], v[17:18], v[19:20], s[42:43]
	s_delay_alu instid0(VALU_DEP_1) | instskip(NEXT) | instid1(VALU_DEP_1)
	v_fma_f64 v[19:20], v[17:18], v[19:20], s[44:45]
	v_fma_f64 v[19:20], v[17:18], v[19:20], s[46:47]
	s_delay_alu instid0(VALU_DEP_1) | instskip(NEXT) | instid1(VALU_DEP_1)
	v_fma_f64 v[19:20], v[17:18], v[19:20], s[48:49]
	;; [unrolled: 3-line block ×3, first 2 shown]
	v_mul_f64 v[21:22], v[17:18], v[19:20]
	s_delay_alu instid0(VALU_DEP_1) | instskip(NEXT) | instid1(VALU_DEP_1)
	v_fma_f64 v[15:16], v[17:18], v[19:20], -v[21:22]
	v_fma_f64 v[15:16], v[13:14], v[19:20], v[15:16]
	s_delay_alu instid0(VALU_DEP_1) | instskip(NEXT) | instid1(VALU_DEP_1)
	v_add_f64 v[19:20], v[21:22], v[15:16]
	v_add_f64 v[23:24], v[19:20], s[6:7]
	v_add_f64 v[21:22], v[19:20], -v[21:22]
	v_cmp_class_f64_e64 s6, v[5:6], 0x204
	s_delay_alu instid0(VALU_DEP_3) | instskip(NEXT) | instid1(VALU_DEP_3)
	v_add_f64 v[27:28], v[23:24], s[54:55]
	v_add_f64 v[15:16], v[15:16], -v[21:22]
	v_fma_f64 v[21:22], v[17:18], v[11:12], -v[25:26]
	s_delay_alu instid0(VALU_DEP_3) | instskip(NEXT) | instid1(VALU_DEP_3)
	v_add_f64 v[19:20], v[19:20], -v[27:28]
	v_add_f64 v[15:16], v[15:16], s[56:57]
	s_delay_alu instid0(VALU_DEP_3) | instskip(SKIP_1) | instid1(VALU_DEP_3)
	v_fma_f64 v[17:18], v[17:18], v[9:10], v[21:22]
	v_ldexp_f64 v[9:10], v[9:10], 1
	v_add_f64 v[15:16], v[15:16], v[19:20]
	s_delay_alu instid0(VALU_DEP_3) | instskip(SKIP_1) | instid1(VALU_DEP_3)
	v_fma_f64 v[13:14], v[13:14], v[11:12], v[17:18]
	v_ldexp_f64 v[11:12], v[11:12], 1
	v_add_f64 v[17:18], v[23:24], v[15:16]
	s_delay_alu instid0(VALU_DEP_3) | instskip(NEXT) | instid1(VALU_DEP_2)
	v_add_f64 v[19:20], v[25:26], v[13:14]
	v_add_f64 v[21:22], v[23:24], -v[17:18]
	s_delay_alu instid0(VALU_DEP_2) | instskip(SKIP_1) | instid1(VALU_DEP_3)
	v_mul_f64 v[23:24], v[19:20], v[17:18]
	v_add_f64 v[25:26], v[19:20], -v[25:26]
	v_add_f64 v[15:16], v[15:16], v[21:22]
	s_delay_alu instid0(VALU_DEP_3) | instskip(NEXT) | instid1(VALU_DEP_3)
	v_fma_f64 v[21:22], v[19:20], v[17:18], -v[23:24]
	v_add_f64 v[13:14], v[13:14], -v[25:26]
	s_delay_alu instid0(VALU_DEP_2) | instskip(NEXT) | instid1(VALU_DEP_1)
	v_fma_f64 v[15:16], v[19:20], v[15:16], v[21:22]
	v_fma_f64 v[13:14], v[13:14], v[17:18], v[15:16]
	v_cvt_f64_i32_e32 v[17:18], v29
	s_delay_alu instid0(VALU_DEP_2) | instskip(NEXT) | instid1(VALU_DEP_1)
	v_add_f64 v[15:16], v[23:24], v[13:14]
	v_add_f64 v[19:20], v[11:12], v[15:16]
	v_add_f64 v[21:22], v[15:16], -v[23:24]
	s_delay_alu instid0(VALU_DEP_4) | instskip(NEXT) | instid1(VALU_DEP_3)
	v_mul_f64 v[23:24], v[17:18], s[58:59]
	v_add_f64 v[11:12], v[19:20], -v[11:12]
	s_delay_alu instid0(VALU_DEP_3) | instskip(NEXT) | instid1(VALU_DEP_3)
	v_add_f64 v[13:14], v[13:14], -v[21:22]
	v_fma_f64 v[21:22], v[17:18], s[58:59], -v[23:24]
	s_delay_alu instid0(VALU_DEP_3) | instskip(NEXT) | instid1(VALU_DEP_3)
	v_add_f64 v[11:12], v[15:16], -v[11:12]
	v_add_f64 v[9:10], v[9:10], v[13:14]
	s_delay_alu instid0(VALU_DEP_3) | instskip(NEXT) | instid1(VALU_DEP_2)
	v_fma_f64 v[13:14], v[17:18], s[62:63], v[21:22]
	v_add_f64 v[9:10], v[9:10], v[11:12]
	s_delay_alu instid0(VALU_DEP_2) | instskip(NEXT) | instid1(VALU_DEP_2)
	v_add_f64 v[11:12], v[23:24], v[13:14]
	v_add_f64 v[15:16], v[19:20], v[9:10]
	s_delay_alu instid0(VALU_DEP_2) | instskip(NEXT) | instid1(VALU_DEP_2)
	v_add_f64 v[23:24], v[11:12], -v[23:24]
	v_add_f64 v[17:18], v[11:12], v[15:16]
	v_add_f64 v[19:20], v[15:16], -v[19:20]
	s_delay_alu instid0(VALU_DEP_3) | instskip(NEXT) | instid1(VALU_DEP_3)
	v_add_f64 v[13:14], v[13:14], -v[23:24]
	v_add_f64 v[21:22], v[17:18], -v[11:12]
	s_delay_alu instid0(VALU_DEP_3) | instskip(NEXT) | instid1(VALU_DEP_2)
	v_add_f64 v[9:10], v[9:10], -v[19:20]
	v_add_f64 v[25:26], v[17:18], -v[21:22]
	;; [unrolled: 1-line block ×3, first 2 shown]
	s_delay_alu instid0(VALU_DEP_3) | instskip(NEXT) | instid1(VALU_DEP_3)
	v_add_f64 v[19:20], v[13:14], v[9:10]
	v_add_f64 v[11:12], v[11:12], -v[25:26]
	s_delay_alu instid0(VALU_DEP_1) | instskip(NEXT) | instid1(VALU_DEP_3)
	v_add_f64 v[11:12], v[15:16], v[11:12]
	v_add_f64 v[15:16], v[19:20], -v[13:14]
	s_delay_alu instid0(VALU_DEP_2) | instskip(NEXT) | instid1(VALU_DEP_2)
	v_add_f64 v[11:12], v[19:20], v[11:12]
	v_add_f64 v[19:20], v[19:20], -v[15:16]
	v_add_f64 v[9:10], v[9:10], -v[15:16]
	s_delay_alu instid0(VALU_DEP_3) | instskip(NEXT) | instid1(VALU_DEP_3)
	v_add_f64 v[21:22], v[17:18], v[11:12]
	v_add_f64 v[13:14], v[13:14], -v[19:20]
	s_delay_alu instid0(VALU_DEP_2) | instskip(NEXT) | instid1(VALU_DEP_2)
	v_add_f64 v[15:16], v[21:22], -v[17:18]
	v_add_f64 v[9:10], v[9:10], v[13:14]
	s_delay_alu instid0(VALU_DEP_2) | instskip(NEXT) | instid1(VALU_DEP_1)
	v_add_f64 v[11:12], v[11:12], -v[15:16]
	v_add_f64 v[9:10], v[9:10], v[11:12]
	s_delay_alu instid0(VALU_DEP_1) | instskip(NEXT) | instid1(VALU_DEP_1)
	v_add_f64 v[11:12], v[21:22], v[9:10]
	v_add_f64 v[13:14], v[11:12], -v[21:22]
	v_mul_f64 v[15:16], v[7:8], v[11:12]
	s_delay_alu instid0(VALU_DEP_2) | instskip(NEXT) | instid1(VALU_DEP_2)
	v_add_f64 v[9:10], v[9:10], -v[13:14]
	v_fma_f64 v[11:12], v[7:8], v[11:12], -v[15:16]
	v_cmp_class_f64_e64 s1, v[15:16], 0x204
	s_delay_alu instid0(VALU_DEP_2) | instskip(NEXT) | instid1(VALU_DEP_1)
	v_fma_f64 v[9:10], v[7:8], v[9:10], v[11:12]
	v_add_f64 v[11:12], v[15:16], v[9:10]
	s_delay_alu instid0(VALU_DEP_1) | instskip(NEXT) | instid1(VALU_DEP_2)
	v_cndmask_b32_e64 v14, v12, v16, s1
	v_cndmask_b32_e64 v13, v11, v15, s1
	v_add_f64 v[11:12], v[11:12], -v[15:16]
	s_delay_alu instid0(VALU_DEP_2)
	v_mul_f64 v[17:18], v[13:14], s[60:61]
	v_cmp_lt_f64_e64 s1, 0x40900000, v[13:14]
	v_cmp_neq_f64_e64 s3, 0x7ff00000, |v[13:14]|
	v_cmp_ngt_f64_e64 s4, 0xc090cc00, v[13:14]
	v_add_f64 v[9:10], v[9:10], -v[11:12]
	v_mul_f64 v[11:12], v[7:8], 0.5
	v_rndne_f64_e32 v[17:18], v[17:18]
	s_delay_alu instid0(VALU_DEP_3) | instskip(NEXT) | instid1(VALU_DEP_4)
	v_cndmask_b32_e64 v10, 0, v10, s3
	v_cndmask_b32_e64 v9, 0, v9, s3
	s_delay_alu instid0(VALU_DEP_3) | instskip(SKIP_1) | instid1(VALU_DEP_2)
	v_fma_f64 v[19:20], v[17:18], s[64:65], v[13:14]
	v_cvt_i32_f64_e32 v23, v[17:18]
	v_fma_f64 v[19:20], v[17:18], s[66:67], v[19:20]
	s_delay_alu instid0(VALU_DEP_1) | instskip(NEXT) | instid1(VALU_DEP_1)
	v_fma_f64 v[21:22], v[19:20], s[70:71], s[68:69]
	v_fma_f64 v[21:22], v[19:20], v[21:22], s[72:73]
	s_delay_alu instid0(VALU_DEP_1) | instskip(NEXT) | instid1(VALU_DEP_1)
	v_fma_f64 v[21:22], v[19:20], v[21:22], s[74:75]
	;; [unrolled: 3-line block ×5, first 2 shown]
	v_fma_f64 v[21:22], v[19:20], v[21:22], 1.0
	s_delay_alu instid0(VALU_DEP_1) | instskip(NEXT) | instid1(VALU_DEP_1)
	v_fma_f64 v[17:18], v[19:20], v[21:22], 1.0
	v_ldexp_f64 v[15:16], v[17:18], v23
	s_delay_alu instid0(VALU_DEP_1) | instskip(SKIP_1) | instid1(VALU_DEP_3)
	v_cndmask_b32_e64 v18, v16, 0x7ff00000, s1
	v_and_b32_e32 v16, 0x7fffffff, v16
	v_cndmask_b32_e64 v17, v15, 0, s1
	s_delay_alu instid0(VALU_DEP_3) | instskip(NEXT) | instid1(VALU_DEP_3)
	v_cndmask_b32_e64 v14, 0, v18, s4
	v_cmp_eq_f64_e64 s3, 0x7ff00000, v[15:16]
	s_delay_alu instid0(VALU_DEP_3) | instskip(SKIP_2) | instid1(VALU_DEP_3)
	v_cndmask_b32_e64 v13, 0, v17, s4
	v_trunc_f64_e32 v[15:16], v[11:12]
	v_trunc_f64_e32 v[17:18], v[7:8]
	v_fma_f64 v[9:10], v[13:14], v[9:10], v[13:14]
	s_or_b32 s3, s1, s3
	s_delay_alu instid0(VALU_DEP_3) | instskip(SKIP_1) | instid1(VALU_DEP_3)
	v_cmp_neq_f64_e64 s1, v[15:16], v[11:12]
	s_and_b32 s3, s4, s3
	v_cmp_eq_f64_e64 s4, v[17:18], v[7:8]
	s_delay_alu instid0(VALU_DEP_3) | instskip(NEXT) | instid1(VALU_DEP_4)
	v_cndmask_b32_e64 v7, v10, v14, s3
	v_cndmask_b32_e64 v9, v9, v13, s3
	v_cmp_gt_f64_e64 s3, 0, v[5:6]
	s_delay_alu instid0(VALU_DEP_4) | instskip(NEXT) | instid1(VALU_DEP_2)
	s_and_b32 s1, s4, s1
	v_cndmask_b32_e64 v8, 0, v9, s4
	v_cndmask_b32_e64 v10, 0x3ff00000, v6, s1
	;; [unrolled: 1-line block ×3, first 2 shown]
	s_delay_alu instid0(VALU_DEP_2) | instskip(NEXT) | instid1(VALU_DEP_1)
	v_bfi_b32 v7, 0x7fffffff, v7, v10
	v_cndmask_b32_e64 v10, 0x7ff80000, v7, s4
	v_cmp_eq_f64_e64 s4, 0, v[5:6]
	s_delay_alu instid0(VALU_DEP_2) | instskip(SKIP_1) | instid1(VALU_DEP_3)
	v_cndmask_b32_e64 v10, v7, v10, s3
	v_cndmask_b32_e64 v7, v9, v8, s3
	s_or_b32 s1, s6, s4
	s_and_b32 s3, s4, exec_lo
	s_cselect_b32 s3, 0, 0x7ff00000
	s_delay_alu instid0(VALU_DEP_1) | instskip(SKIP_1) | instid1(VALU_DEP_1)
	v_cndmask_b32_e64 v7, v7, 0, s1
	v_bfi_b32 v8, 0x7fffffff, s3, v11
	v_cndmask_b32_e64 v8, v10, v8, s1
	v_cmp_o_f64_e64 s1, v[5:6], v[5:6]
	s_delay_alu instid0(VALU_DEP_2) | instskip(NEXT) | instid1(VALU_DEP_1)
	v_add_f64 v[7:8], -v[7:8], 1.0
	v_cndmask_b32_e64 v6, 0x7ff80000, v8, s1
	s_delay_alu instid0(VALU_DEP_2) | instskip(NEXT) | instid1(VALU_DEP_1)
	v_cndmask_b32_e64 v5, 0, v7, s1
	v_cvt_f32_f64_e32 v7, v[5:6]
	v_cndmask_b32_e32 v5, 0, v4, vcc_lo
	v_cmp_o_f64_e32 vcc_lo, v[3:4], v[3:4]
	s_delay_alu instid0(VALU_DEP_2) | instskip(SKIP_1) | instid1(VALU_DEP_2)
	v_bfi_b32 v6, 0x7fffffff, s13, v5
	v_cndmask_b32_e64 v5, v31, 0, s0
	v_cndmask_b32_e64 v6, v30, v6, s0
	s_delay_alu instid0(VALU_DEP_1) | instskip(SKIP_2) | instid1(VALU_DEP_1)
	v_add_f64 v[5:6], -v[5:6], 1.0
	v_mul_f32_e32 v3, 0x4f800000, v7
	v_cmp_gt_f32_e64 s0, 0xf800000, v7
	v_cndmask_b32_e64 v7, v7, v3, s0
	s_delay_alu instid0(VALU_DEP_1) | instskip(NEXT) | instid1(VALU_DEP_4)
	v_sqrt_f32_e32 v8, v7
	v_cndmask_b32_e32 v4, 0x7ff80000, v6, vcc_lo
	v_cndmask_b32_e32 v3, 0, v5, vcc_lo
	s_waitcnt_depctr 0xfff
	v_add_nc_u32_e32 v5, -1, v8
	v_cvt_f32_f64_e32 v3, v[3:4]
	v_add_nc_u32_e32 v4, 1, v8
	s_delay_alu instid0(VALU_DEP_3) | instskip(NEXT) | instid1(VALU_DEP_2)
	v_fma_f32 v6, -v5, v8, v7
	v_fma_f32 v9, -v4, v8, v7
	s_delay_alu instid0(VALU_DEP_2) | instskip(SKIP_1) | instid1(VALU_DEP_3)
	v_cmp_ge_f32_e32 vcc_lo, 0, v6
	v_cndmask_b32_e32 v5, v8, v5, vcc_lo
	v_cmp_lt_f32_e32 vcc_lo, 0, v9
	s_delay_alu instid0(VALU_DEP_2) | instskip(SKIP_1) | instid1(VALU_DEP_2)
	v_cndmask_b32_e32 v4, v5, v4, vcc_lo
	v_cmp_class_f32_e64 vcc_lo, v7, 0x260
	v_mul_f32_e32 v5, 0x37800000, v4
	s_delay_alu instid0(VALU_DEP_1) | instskip(NEXT) | instid1(VALU_DEP_1)
	v_cndmask_b32_e64 v4, v4, v5, s0
	v_cndmask_b32_e32 v4, v4, v7, vcc_lo
	s_delay_alu instid0(VALU_DEP_1) | instskip(NEXT) | instid1(VALU_DEP_1)
	v_mul_f32_e32 v4, s8, v4
	v_div_scale_f32 v5, null, v3, v3, v4
	s_delay_alu instid0(VALU_DEP_1) | instskip(SKIP_2) | instid1(VALU_DEP_1)
	v_rcp_f32_e32 v6, v5
	s_waitcnt_depctr 0xfff
	v_fma_f32 v7, -v5, v6, 1.0
	v_fmac_f32_e32 v6, v7, v6
	v_div_scale_f32 v7, vcc_lo, v4, v3, v4
	s_delay_alu instid0(VALU_DEP_1) | instskip(NEXT) | instid1(VALU_DEP_1)
	v_mul_f32_e32 v8, v7, v6
	v_fma_f32 v9, -v5, v8, v7
	s_delay_alu instid0(VALU_DEP_1) | instskip(NEXT) | instid1(VALU_DEP_1)
	v_fmac_f32_e32 v8, v9, v6
	v_fma_f32 v5, -v5, v8, v7
	s_delay_alu instid0(VALU_DEP_1) | instskip(NEXT) | instid1(VALU_DEP_1)
	v_div_fmas_f32 v5, v5, v6, v8
	v_div_fixup_f32 v9, v5, v3, v4
	s_branch .LBB6_21
.LBB6_20:
	v_mov_b32_e32 v3, s8
	s_delay_alu instid0(VALU_DEP_1)
	v_cndmask_b32_e64 v9, s13, v3, s0
.LBB6_21:
	v_lshlrev_b64 v[3:4], 1, v[1:2]
	v_lshlrev_b64 v[5:6], 2, v[1:2]
	v_sub_f32_e64 v10, 1.0, s9
	v_sub_f32_e64 v11, 1.0, s10
	s_mul_i32 s4, s88, s33
	s_cmp_lg_u64 s[20:21], 0
	v_add_co_u32 v3, vcc_lo, s20, v3
	v_add_co_ci_u32_e32 v4, vcc_lo, s21, v4, vcc_lo
	s_cselect_b32 s1, -1, 0
	s_lshl_b64 s[6:7], s[4:5], 1
	s_lshl_b64 s[14:15], s[4:5], 2
	s_branch .LBB6_23
.LBB6_22:                               ;   in Loop: Header=BB6_23 Depth=1
	v_add_co_u32 v1, vcc_lo, v1, s4
	v_add_co_ci_u32_e32 v2, vcc_lo, 0, v2, vcc_lo
	v_add_co_u32 v3, vcc_lo, v3, s6
	v_add_co_ci_u32_e32 v4, vcc_lo, s7, v4, vcc_lo
	s_delay_alu instid0(VALU_DEP_3) | instskip(SKIP_1) | instid1(VALU_DEP_1)
	v_cmp_le_u64_e32 vcc_lo, s[34:35], v[1:2]
	v_add_co_u32 v5, s0, v5, s14
	v_add_co_ci_u32_e64 v6, s0, s15, v6, s0
	s_or_b32 s5, vcc_lo, s5
	s_delay_alu instid0(SALU_CYCLE_1)
	s_and_not1_b32 exec_lo, exec_lo, s5
	s_cbranch_execz .LBB6_26
.LBB6_23:                               ; =>This Inner Loop Header: Depth=1
	v_add_co_u32 v7, vcc_lo, s22, v5
	v_add_co_ci_u32_e32 v8, vcc_lo, s23, v6, vcc_lo
	global_load_b32 v12, v[7:8], off
	v_add_co_u32 v7, vcc_lo, s28, v5
	v_add_co_ci_u32_e32 v8, vcc_lo, s29, v6, vcc_lo
	global_load_b32 v13, v[7:8], off
	;; [unrolled: 3-line block ×4, first 2 shown]
	s_waitcnt vmcnt(3)
	v_div_scale_f32 v7, null, v0, v0, v12
	v_div_scale_f32 v17, vcc_lo, v12, v0, v12
	s_delay_alu instid0(VALU_DEP_2) | instskip(SKIP_2) | instid1(VALU_DEP_1)
	v_rcp_f32_e32 v8, v7
	s_waitcnt_depctr 0xfff
	v_fma_f32 v16, -v7, v8, 1.0
	v_fmac_f32_e32 v8, v16, v8
	s_delay_alu instid0(VALU_DEP_1) | instskip(NEXT) | instid1(VALU_DEP_1)
	v_mul_f32_e32 v16, v17, v8
	v_fma_f32 v18, -v7, v16, v17
	s_delay_alu instid0(VALU_DEP_1) | instskip(NEXT) | instid1(VALU_DEP_1)
	v_fmac_f32_e32 v16, v18, v8
	v_fma_f32 v7, -v7, v16, v17
	s_delay_alu instid0(VALU_DEP_1) | instskip(SKIP_2) | instid1(VALU_DEP_2)
	v_div_fmas_f32 v7, v7, v8, v16
	s_waitcnt vmcnt(2)
	v_mul_f32_e32 v16, s10, v13
	v_div_fixup_f32 v7, v7, v0, v12
	s_delay_alu instid0(VALU_DEP_1) | instskip(NEXT) | instid1(VALU_DEP_1)
	v_cndmask_b32_e64 v7, v7, v12, s2
	v_mul_f32_e32 v8, v7, v7
	s_delay_alu instid0(VALU_DEP_1) | instskip(NEXT) | instid1(VALU_DEP_1)
	v_fmac_f32_e32 v16, v11, v8
	v_mul_f32_e32 v8, 0x4f800000, v16
	v_cmp_gt_f32_e32 vcc_lo, 0xf800000, v16
	s_delay_alu instid0(VALU_DEP_2) | instskip(NEXT) | instid1(VALU_DEP_1)
	v_cndmask_b32_e32 v8, v16, v8, vcc_lo
	v_sqrt_f32_e32 v12, v8
	s_waitcnt_depctr 0xfff
	v_add_nc_u32_e32 v13, -1, v12
	v_add_nc_u32_e32 v17, 1, v12
	s_delay_alu instid0(VALU_DEP_2) | instskip(NEXT) | instid1(VALU_DEP_2)
	v_fma_f32 v18, -v13, v12, v8
	v_fma_f32 v19, -v17, v12, v8
	s_delay_alu instid0(VALU_DEP_2) | instskip(NEXT) | instid1(VALU_DEP_1)
	v_cmp_ge_f32_e64 s0, 0, v18
	v_cndmask_b32_e64 v12, v12, v13, s0
	s_delay_alu instid0(VALU_DEP_3) | instskip(NEXT) | instid1(VALU_DEP_1)
	v_cmp_lt_f32_e64 s0, 0, v19
	v_cndmask_b32_e64 v12, v12, v17, s0
	s_waitcnt vmcnt(1)
	v_mul_f32_e32 v17, s9, v14
	s_delay_alu instid0(VALU_DEP_1) | instskip(NEXT) | instid1(VALU_DEP_3)
	v_fmac_f32_e32 v17, v10, v7
	v_mul_f32_e32 v13, 0x37800000, v12
	s_delay_alu instid0(VALU_DEP_1) | instskip(SKIP_1) | instid1(VALU_DEP_2)
	v_cndmask_b32_e32 v12, v12, v13, vcc_lo
	v_cmp_class_f32_e64 vcc_lo, v8, 0x260
	v_dual_cndmask_b32 v7, v12, v8 :: v_dual_mul_f32 v8, v9, v17
	s_delay_alu instid0(VALU_DEP_1) | instskip(NEXT) | instid1(VALU_DEP_1)
	v_add_f32_e32 v7, s11, v7
	v_div_scale_f32 v12, null, v7, v7, v8
	v_div_scale_f32 v18, vcc_lo, v8, v7, v8
	s_delay_alu instid0(VALU_DEP_2) | instskip(SKIP_2) | instid1(VALU_DEP_1)
	v_rcp_f32_e32 v13, v12
	s_waitcnt_depctr 0xfff
	v_fma_f32 v14, -v12, v13, 1.0
	v_fmac_f32_e32 v13, v14, v13
	s_delay_alu instid0(VALU_DEP_1) | instskip(NEXT) | instid1(VALU_DEP_1)
	v_mul_f32_e32 v14, v18, v13
	v_fma_f32 v19, -v12, v14, v18
	s_delay_alu instid0(VALU_DEP_1) | instskip(NEXT) | instid1(VALU_DEP_1)
	v_fmac_f32_e32 v14, v19, v13
	v_fma_f32 v12, -v12, v14, v18
	s_delay_alu instid0(VALU_DEP_1) | instskip(NEXT) | instid1(VALU_DEP_1)
	v_div_fmas_f32 v12, v12, v13, v14
	v_div_fixup_f32 v12, v12, v7, v8
	v_add_co_u32 v7, vcc_lo, s18, v5
	v_add_co_ci_u32_e32 v8, vcc_lo, s19, v6, vcc_lo
	s_waitcnt vmcnt(0)
	s_delay_alu instid0(VALU_DEP_3) | instskip(SKIP_2) | instid1(VALU_DEP_3)
	v_sub_f32_e32 v14, v15, v12
	v_add_co_u32 v12, vcc_lo, s26, v5
	v_add_co_ci_u32_e32 v13, vcc_lo, s27, v6, vcc_lo
	v_fma_f32 v18, -v14, s12, v14
	v_add_co_u32 v14, vcc_lo, s30, v5
	v_add_co_ci_u32_e32 v15, vcc_lo, s31, v6, vcc_lo
	s_and_not1_b32 vcc_lo, exec_lo, s1
	global_store_b32 v[7:8], v18, off
	global_store_b32 v[12:13], v17, off
	;; [unrolled: 1-line block ×3, first 2 shown]
	s_cbranch_vccnz .LBB6_22
; %bb.24:                               ;   in Loop: Header=BB6_23 Depth=1
	global_load_b32 v7, v[7:8], off
	s_waitcnt vmcnt(0)
	v_cvt_f16_f32_e32 v7, v7
	global_store_b16 v[3:4], v7, off
	s_branch .LBB6_22
.LBB6_25:
	s_cbranch_execnz .LBB6_16
.LBB6_26:
	s_nop 0
	s_sendmsg sendmsg(MSG_DEALLOC_VGPRS)
	s_endpgm
	.section	.rodata,"a",@progbits
	.p2align	6, 0x0
	.amdhsa_kernel TransformersAmpAdamWContiguousWithStep
		.amdhsa_group_segment_fixed_size 0
		.amdhsa_private_segment_fixed_size 0
		.amdhsa_kernarg_size 384
		.amdhsa_user_sgpr_count 15
		.amdhsa_user_sgpr_dispatch_ptr 0
		.amdhsa_user_sgpr_queue_ptr 0
		.amdhsa_user_sgpr_kernarg_segment_ptr 1
		.amdhsa_user_sgpr_dispatch_id 0
		.amdhsa_user_sgpr_private_segment_size 0
		.amdhsa_wavefront_size32 1
		.amdhsa_uses_dynamic_stack 0
		.amdhsa_enable_private_segment 0
		.amdhsa_system_sgpr_workgroup_id_x 1
		.amdhsa_system_sgpr_workgroup_id_y 0
		.amdhsa_system_sgpr_workgroup_id_z 0
		.amdhsa_system_sgpr_workgroup_info 0
		.amdhsa_system_vgpr_workitem_id 0
		.amdhsa_next_free_vgpr 32
		.amdhsa_next_free_sgpr 89
		.amdhsa_reserve_vcc 1
		.amdhsa_float_round_mode_32 0
		.amdhsa_float_round_mode_16_64 0
		.amdhsa_float_denorm_mode_32 3
		.amdhsa_float_denorm_mode_16_64 3
		.amdhsa_dx10_clamp 1
		.amdhsa_ieee_mode 1
		.amdhsa_fp16_overflow 0
		.amdhsa_workgroup_processor_mode 1
		.amdhsa_memory_ordered 1
		.amdhsa_forward_progress 0
		.amdhsa_shared_vgpr_count 0
		.amdhsa_exception_fp_ieee_invalid_op 0
		.amdhsa_exception_fp_denorm_src 0
		.amdhsa_exception_fp_ieee_div_zero 0
		.amdhsa_exception_fp_ieee_overflow 0
		.amdhsa_exception_fp_ieee_underflow 0
		.amdhsa_exception_fp_ieee_inexact 0
		.amdhsa_exception_int_div_zero 0
	.end_amdhsa_kernel
	.text
.Lfunc_end6:
	.size	TransformersAmpAdamWContiguousWithStep, .Lfunc_end6-TransformersAmpAdamWContiguousWithStep
                                        ; -- End function
	.section	.AMDGPU.csdata,"",@progbits
; Kernel info:
; codeLenInByte = 5600
; NumSgprs: 91
; NumVgprs: 32
; ScratchSize: 0
; MemoryBound: 0
; FloatMode: 240
; IeeeMode: 1
; LDSByteSize: 0 bytes/workgroup (compile time only)
; SGPRBlocks: 11
; VGPRBlocks: 3
; NumSGPRsForWavesPerEU: 91
; NumVGPRsForWavesPerEU: 32
; Occupancy: 16
; WaveLimiterHint : 0
; COMPUTE_PGM_RSRC2:SCRATCH_EN: 0
; COMPUTE_PGM_RSRC2:USER_SGPR: 15
; COMPUTE_PGM_RSRC2:TRAP_HANDLER: 0
; COMPUTE_PGM_RSRC2:TGID_X_EN: 1
; COMPUTE_PGM_RSRC2:TGID_Y_EN: 0
; COMPUTE_PGM_RSRC2:TGID_Z_EN: 0
; COMPUTE_PGM_RSRC2:TIDIG_COMP_CNT: 0
	.text
	.p2alignl 7, 3214868480
	.fill 96, 4, 3214868480
	.type	__hip_cuid_37456280f3750399,@object ; @__hip_cuid_37456280f3750399
	.section	.bss,"aw",@nobits
	.globl	__hip_cuid_37456280f3750399
__hip_cuid_37456280f3750399:
	.byte	0                               ; 0x0
	.size	__hip_cuid_37456280f3750399, 1

	.ident	"AMD clang version 19.0.0git (https://github.com/RadeonOpenCompute/llvm-project roc-6.4.0 25133 c7fe45cf4b819c5991fe208aaa96edf142730f1d)"
	.section	".note.GNU-stack","",@progbits
	.addrsig
	.addrsig_sym __hip_cuid_37456280f3750399
	.amdgpu_metadata
---
amdhsa.kernels:
  - .args:
      - .address_space:  global
        .offset:         0
        .size:           8
        .value_kind:     global_buffer
      - .address_space:  global
        .offset:         8
        .size:           8
        .value_kind:     global_buffer
      - .address_space:  global
        .offset:         16
        .size:           8
        .value_kind:     global_buffer
      - .address_space:  global
        .offset:         24
        .size:           8
        .value_kind:     global_buffer
      - .address_space:  global
        .offset:         32
        .size:           8
        .value_kind:     global_buffer
      - .address_space:  global
        .offset:         40
        .size:           8
        .value_kind:     global_buffer
      - .address_space:  global
        .offset:         48
        .size:           8
        .value_kind:     global_buffer
      - .address_space:  global
        .offset:         56
        .size:           8
        .value_kind:     global_buffer
      - .address_space:  global
        .offset:         64
        .size:           8
        .value_kind:     global_buffer
      - .offset:         72
        .size:           4
        .value_kind:     by_value
      - .offset:         76
        .size:           4
        .value_kind:     by_value
      - .offset:         80
        .size:           4
        .value_kind:     by_value
      - .offset:         84
        .size:           4
        .value_kind:     by_value
      - .offset:         88
        .size:           4
        .value_kind:     by_value
      - .offset:         92
        .size:           4
        .value_kind:     by_value
      - .offset:         96
        .size:           1
        .value_kind:     by_value
      - .offset:         97
        .size:           1
        .value_kind:     by_value
      - .offset:         98
        .size:           1
        .value_kind:     by_value
      - .offset:         104
        .size:           8
        .value_kind:     by_value
      - .offset:         112
        .size:           4
        .value_kind:     hidden_block_count_x
      - .offset:         116
        .size:           4
        .value_kind:     hidden_block_count_y
      - .offset:         120
        .size:           4
        .value_kind:     hidden_block_count_z
      - .offset:         124
        .size:           2
        .value_kind:     hidden_group_size_x
      - .offset:         126
        .size:           2
        .value_kind:     hidden_group_size_y
      - .offset:         128
        .size:           2
        .value_kind:     hidden_group_size_z
      - .offset:         130
        .size:           2
        .value_kind:     hidden_remainder_x
      - .offset:         132
        .size:           2
        .value_kind:     hidden_remainder_y
      - .offset:         134
        .size:           2
        .value_kind:     hidden_remainder_z
      - .offset:         152
        .size:           8
        .value_kind:     hidden_global_offset_x
      - .offset:         160
        .size:           8
        .value_kind:     hidden_global_offset_y
      - .offset:         168
        .size:           8
        .value_kind:     hidden_global_offset_z
      - .offset:         176
        .size:           2
        .value_kind:     hidden_grid_dims
    .group_segment_fixed_size: 0
    .kernarg_segment_align: 8
    .kernarg_segment_size: 368
    .language:       OpenCL C
    .language_version:
      - 2
      - 0
    .max_flat_workgroup_size: 1024
    .name:           AdamContiguous
    .private_segment_fixed_size: 0
    .sgpr_count:     86
    .sgpr_spill_count: 0
    .symbol:         AdamContiguous.kd
    .uniform_work_group_size: 1
    .uses_dynamic_stack: false
    .vgpr_count:     33
    .vgpr_spill_count: 0
    .wavefront_size: 32
    .workgroup_processor_mode: 1
  - .args:
      - .address_space:  global
        .offset:         0
        .size:           8
        .value_kind:     global_buffer
      - .address_space:  global
        .offset:         8
        .size:           8
        .value_kind:     global_buffer
      - .address_space:  global
        .offset:         16
        .size:           8
        .value_kind:     global_buffer
      - .address_space:  global
        .offset:         24
        .size:           8
        .value_kind:     global_buffer
      - .address_space:  global
        .offset:         32
        .size:           8
        .value_kind:     global_buffer
      - .address_space:  global
        .offset:         40
        .size:           8
        .value_kind:     global_buffer
      - .address_space:  global
        .offset:         48
        .size:           8
        .value_kind:     global_buffer
      - .address_space:  global
        .offset:         56
        .size:           8
        .value_kind:     global_buffer
      - .address_space:  global
        .offset:         64
        .size:           8
        .value_kind:     global_buffer
      - .address_space:  global
        .offset:         72
        .size:           8
        .value_kind:     global_buffer
      - .address_space:  global
        .offset:         80
        .size:           8
        .value_kind:     global_buffer
      - .address_space:  global
        .offset:         88
        .size:           8
        .value_kind:     global_buffer
      - .address_space:  global
        .offset:         96
        .size:           8
        .value_kind:     global_buffer
      - .offset:         104
        .size:           4
        .value_kind:     by_value
      - .offset:         108
        .size:           4
        .value_kind:     by_value
      - .offset:         112
        .size:           4
        .value_kind:     by_value
      - .offset:         116
        .size:           4
        .value_kind:     by_value
      - .offset:         120
        .size:           4
        .value_kind:     by_value
      - .offset:         124
        .size:           1
        .value_kind:     by_value
      - .offset:         125
        .size:           1
        .value_kind:     by_value
      - .offset:         126
        .size:           1
        .value_kind:     by_value
      - .offset:         128
        .size:           8
        .value_kind:     by_value
      - .offset:         136
        .size:           4
        .value_kind:     hidden_block_count_x
      - .offset:         140
        .size:           4
        .value_kind:     hidden_block_count_y
      - .offset:         144
        .size:           4
        .value_kind:     hidden_block_count_z
      - .offset:         148
        .size:           2
        .value_kind:     hidden_group_size_x
      - .offset:         150
        .size:           2
        .value_kind:     hidden_group_size_y
      - .offset:         152
        .size:           2
        .value_kind:     hidden_group_size_z
      - .offset:         154
        .size:           2
        .value_kind:     hidden_remainder_x
      - .offset:         156
        .size:           2
        .value_kind:     hidden_remainder_y
      - .offset:         158
        .size:           2
        .value_kind:     hidden_remainder_z
      - .offset:         176
        .size:           8
        .value_kind:     hidden_global_offset_x
      - .offset:         184
        .size:           8
        .value_kind:     hidden_global_offset_y
      - .offset:         192
        .size:           8
        .value_kind:     hidden_global_offset_z
      - .offset:         200
        .size:           2
        .value_kind:     hidden_grid_dims
    .group_segment_fixed_size: 0
    .kernarg_segment_align: 8
    .kernarg_segment_size: 392
    .language:       OpenCL C
    .language_version:
      - 2
      - 0
    .max_flat_workgroup_size: 1024
    .name:           AmpAdamContiguousWithStep
    .private_segment_fixed_size: 0
    .sgpr_count:     104
    .sgpr_spill_count: 0
    .symbol:         AmpAdamContiguousWithStep.kd
    .uniform_work_group_size: 1
    .uses_dynamic_stack: false
    .vgpr_count:     33
    .vgpr_spill_count: 0
    .wavefront_size: 32
    .workgroup_processor_mode: 1
  - .args:
      - .address_space:  global
        .offset:         0
        .size:           8
        .value_kind:     global_buffer
      - .address_space:  global
        .offset:         8
        .size:           8
        .value_kind:     global_buffer
      - .address_space:  global
        .offset:         16
        .size:           8
        .value_kind:     global_buffer
      - .address_space:  global
        .offset:         24
        .size:           8
        .value_kind:     global_buffer
      - .address_space:  global
        .offset:         32
        .size:           8
        .value_kind:     global_buffer
      - .address_space:  global
        .offset:         40
        .size:           8
        .value_kind:     global_buffer
      - .address_space:  global
        .offset:         48
        .size:           8
        .value_kind:     global_buffer
      - .address_space:  global
        .offset:         56
        .size:           8
        .value_kind:     global_buffer
      - .address_space:  global
        .offset:         64
        .size:           8
        .value_kind:     global_buffer
      - .address_space:  global
        .offset:         72
        .size:           8
        .value_kind:     global_buffer
      - .address_space:  global
        .offset:         80
        .size:           8
        .value_kind:     global_buffer
      - .address_space:  global
        .offset:         88
        .size:           8
        .value_kind:     global_buffer
      - .offset:         96
        .size:           4
        .value_kind:     by_value
      - .offset:         100
        .size:           4
        .value_kind:     by_value
      - .offset:         104
        .size:           4
        .value_kind:     by_value
      - .offset:         108
        .size:           4
        .value_kind:     by_value
      - .offset:         112
        .size:           4
        .value_kind:     by_value
      - .offset:         116
        .size:           4
        .value_kind:     by_value
      - .offset:         120
        .size:           1
        .value_kind:     by_value
      - .offset:         121
        .size:           1
        .value_kind:     by_value
      - .offset:         122
        .size:           1
        .value_kind:     by_value
      - .offset:         128
        .size:           8
        .value_kind:     by_value
      - .offset:         136
        .size:           4
        .value_kind:     hidden_block_count_x
      - .offset:         140
        .size:           4
        .value_kind:     hidden_block_count_y
      - .offset:         144
        .size:           4
        .value_kind:     hidden_block_count_z
      - .offset:         148
        .size:           2
        .value_kind:     hidden_group_size_x
      - .offset:         150
        .size:           2
        .value_kind:     hidden_group_size_y
      - .offset:         152
        .size:           2
        .value_kind:     hidden_group_size_z
      - .offset:         154
        .size:           2
        .value_kind:     hidden_remainder_x
      - .offset:         156
        .size:           2
        .value_kind:     hidden_remainder_y
      - .offset:         158
        .size:           2
        .value_kind:     hidden_remainder_z
      - .offset:         176
        .size:           8
        .value_kind:     hidden_global_offset_x
      - .offset:         184
        .size:           8
        .value_kind:     hidden_global_offset_y
      - .offset:         192
        .size:           8
        .value_kind:     hidden_global_offset_z
      - .offset:         200
        .size:           2
        .value_kind:     hidden_grid_dims
    .group_segment_fixed_size: 0
    .kernarg_segment_align: 8
    .kernarg_segment_size: 392
    .language:       OpenCL C
    .language_version:
      - 2
      - 0
    .max_flat_workgroup_size: 1024
    .name:           AmpAdamContiguous
    .private_segment_fixed_size: 0
    .sgpr_count:     104
    .sgpr_spill_count: 0
    .symbol:         AmpAdamContiguous.kd
    .uniform_work_group_size: 1
    .uses_dynamic_stack: false
    .vgpr_count:     33
    .vgpr_spill_count: 0
    .wavefront_size: 32
    .workgroup_processor_mode: 1
  - .args:
      - .address_space:  global
        .offset:         0
        .size:           8
        .value_kind:     global_buffer
      - .address_space:  global
        .offset:         8
        .size:           8
        .value_kind:     global_buffer
      - .address_space:  global
        .offset:         16
        .size:           8
        .value_kind:     global_buffer
      - .offset:         24
        .size:           4
        .value_kind:     hidden_block_count_x
      - .offset:         28
        .size:           4
        .value_kind:     hidden_block_count_y
      - .offset:         32
        .size:           4
        .value_kind:     hidden_block_count_z
      - .offset:         36
        .size:           2
        .value_kind:     hidden_group_size_x
      - .offset:         38
        .size:           2
        .value_kind:     hidden_group_size_y
      - .offset:         40
        .size:           2
        .value_kind:     hidden_group_size_z
      - .offset:         42
        .size:           2
        .value_kind:     hidden_remainder_x
      - .offset:         44
        .size:           2
        .value_kind:     hidden_remainder_y
      - .offset:         46
        .size:           2
        .value_kind:     hidden_remainder_z
      - .offset:         64
        .size:           8
        .value_kind:     hidden_global_offset_x
      - .offset:         72
        .size:           8
        .value_kind:     hidden_global_offset_y
      - .offset:         80
        .size:           8
        .value_kind:     hidden_global_offset_z
      - .offset:         88
        .size:           2
        .value_kind:     hidden_grid_dims
    .group_segment_fixed_size: 0
    .kernarg_segment_align: 8
    .kernarg_segment_size: 280
    .language:       OpenCL C
    .language_version:
      - 2
      - 0
    .max_flat_workgroup_size: 1024
    .name:           AdamUpdateStep
    .private_segment_fixed_size: 0
    .sgpr_count:     18
    .sgpr_spill_count: 0
    .symbol:         AdamUpdateStep.kd
    .uniform_work_group_size: 1
    .uses_dynamic_stack: false
    .vgpr_count:     2
    .vgpr_spill_count: 0
    .wavefront_size: 32
    .workgroup_processor_mode: 1
  - .args:
      - .address_space:  global
        .offset:         0
        .size:           8
        .value_kind:     global_buffer
      - .address_space:  global
        .offset:         8
        .size:           8
        .value_kind:     global_buffer
      - .address_space:  global
        .offset:         16
        .size:           8
        .value_kind:     global_buffer
      - .address_space:  global
        .offset:         24
        .size:           8
        .value_kind:     global_buffer
      - .address_space:  global
        .offset:         32
        .size:           8
        .value_kind:     global_buffer
      - .address_space:  global
        .offset:         40
        .size:           8
        .value_kind:     global_buffer
      - .address_space:  global
        .offset:         48
        .size:           8
        .value_kind:     global_buffer
      - .offset:         56
        .size:           4
        .value_kind:     by_value
      - .offset:         60
        .size:           4
        .value_kind:     by_value
      - .offset:         64
        .size:           4
        .value_kind:     by_value
      - .offset:         68
        .size:           4
        .value_kind:     by_value
      - .offset:         72
        .size:           4
        .value_kind:     by_value
      - .offset:         80
        .size:           8
        .value_kind:     by_value
      - .offset:         88
        .size:           4
        .value_kind:     hidden_block_count_x
      - .offset:         92
        .size:           4
        .value_kind:     hidden_block_count_y
      - .offset:         96
        .size:           4
        .value_kind:     hidden_block_count_z
      - .offset:         100
        .size:           2
        .value_kind:     hidden_group_size_x
      - .offset:         102
        .size:           2
        .value_kind:     hidden_group_size_y
      - .offset:         104
        .size:           2
        .value_kind:     hidden_group_size_z
      - .offset:         106
        .size:           2
        .value_kind:     hidden_remainder_x
      - .offset:         108
        .size:           2
        .value_kind:     hidden_remainder_y
      - .offset:         110
        .size:           2
        .value_kind:     hidden_remainder_z
      - .offset:         128
        .size:           8
        .value_kind:     hidden_global_offset_x
      - .offset:         136
        .size:           8
        .value_kind:     hidden_global_offset_y
      - .offset:         144
        .size:           8
        .value_kind:     hidden_global_offset_z
      - .offset:         152
        .size:           2
        .value_kind:     hidden_grid_dims
    .group_segment_fixed_size: 0
    .kernarg_segment_align: 8
    .kernarg_segment_size: 344
    .language:       OpenCL C
    .language_version:
      - 2
      - 0
    .max_flat_workgroup_size: 1024
    .name:           TransformersAdamWContiguous
    .private_segment_fixed_size: 0
    .sgpr_count:     29
    .sgpr_spill_count: 0
    .symbol:         TransformersAdamWContiguous.kd
    .uniform_work_group_size: 1
    .uses_dynamic_stack: false
    .vgpr_count:     22
    .vgpr_spill_count: 0
    .wavefront_size: 32
    .workgroup_processor_mode: 1
  - .args:
      - .address_space:  global
        .offset:         0
        .size:           8
        .value_kind:     global_buffer
      - .address_space:  global
        .offset:         8
        .size:           8
        .value_kind:     global_buffer
      - .address_space:  global
        .offset:         16
        .size:           8
        .value_kind:     global_buffer
      - .address_space:  global
        .offset:         24
        .size:           8
        .value_kind:     global_buffer
      - .address_space:  global
        .offset:         32
        .size:           8
        .value_kind:     global_buffer
      - .address_space:  global
        .offset:         40
        .size:           8
        .value_kind:     global_buffer
      - .address_space:  global
        .offset:         48
        .size:           8
        .value_kind:     global_buffer
      - .address_space:  global
        .offset:         56
        .size:           8
        .value_kind:     global_buffer
      - .address_space:  global
        .offset:         64
        .size:           8
        .value_kind:     global_buffer
      - .address_space:  global
        .offset:         72
        .size:           8
        .value_kind:     global_buffer
      - .offset:         80
        .size:           4
        .value_kind:     by_value
      - .offset:         84
        .size:           4
        .value_kind:     by_value
      - .offset:         88
        .size:           4
        .value_kind:     by_value
      - .offset:         92
        .size:           4
        .value_kind:     by_value
      - .offset:         96
        .size:           4
        .value_kind:     by_value
      - .offset:         104
        .size:           8
        .value_kind:     by_value
      - .offset:         112
        .size:           4
        .value_kind:     hidden_block_count_x
      - .offset:         116
        .size:           4
        .value_kind:     hidden_block_count_y
      - .offset:         120
        .size:           4
        .value_kind:     hidden_block_count_z
      - .offset:         124
        .size:           2
        .value_kind:     hidden_group_size_x
      - .offset:         126
        .size:           2
        .value_kind:     hidden_group_size_y
      - .offset:         128
        .size:           2
        .value_kind:     hidden_group_size_z
      - .offset:         130
        .size:           2
        .value_kind:     hidden_remainder_x
      - .offset:         132
        .size:           2
        .value_kind:     hidden_remainder_y
      - .offset:         134
        .size:           2
        .value_kind:     hidden_remainder_z
      - .offset:         152
        .size:           8
        .value_kind:     hidden_global_offset_x
      - .offset:         160
        .size:           8
        .value_kind:     hidden_global_offset_y
      - .offset:         168
        .size:           8
        .value_kind:     hidden_global_offset_z
      - .offset:         176
        .size:           2
        .value_kind:     hidden_grid_dims
    .group_segment_fixed_size: 0
    .kernarg_segment_align: 8
    .kernarg_segment_size: 368
    .language:       OpenCL C
    .language_version:
      - 2
      - 0
    .max_flat_workgroup_size: 1024
    .name:           TransformersAmpAdamWContiguous
    .private_segment_fixed_size: 0
    .sgpr_count:     34
    .sgpr_spill_count: 0
    .symbol:         TransformersAmpAdamWContiguous.kd
    .uniform_work_group_size: 1
    .uses_dynamic_stack: false
    .vgpr_count:     19
    .vgpr_spill_count: 0
    .wavefront_size: 32
    .workgroup_processor_mode: 1
  - .args:
      - .address_space:  global
        .offset:         0
        .size:           8
        .value_kind:     global_buffer
      - .address_space:  global
        .offset:         8
        .size:           8
        .value_kind:     global_buffer
      - .address_space:  global
        .offset:         16
        .size:           8
        .value_kind:     global_buffer
      - .address_space:  global
        .offset:         24
        .size:           8
        .value_kind:     global_buffer
      - .address_space:  global
        .offset:         32
        .size:           8
        .value_kind:     global_buffer
      - .address_space:  global
        .offset:         40
        .size:           8
        .value_kind:     global_buffer
      - .address_space:  global
        .offset:         48
        .size:           8
        .value_kind:     global_buffer
      - .address_space:  global
        .offset:         56
        .size:           8
        .value_kind:     global_buffer
      - .address_space:  global
        .offset:         64
        .size:           8
        .value_kind:     global_buffer
      - .address_space:  global
        .offset:         72
        .size:           8
        .value_kind:     global_buffer
      - .address_space:  global
        .offset:         80
        .size:           8
        .value_kind:     global_buffer
      - .offset:         88
        .size:           4
        .value_kind:     by_value
      - .offset:         92
        .size:           4
        .value_kind:     by_value
      - .offset:         96
        .size:           4
        .value_kind:     by_value
      - .offset:         100
        .size:           4
        .value_kind:     by_value
      - .offset:         104
        .size:           4
        .value_kind:     by_value
      - .offset:         108
        .size:           4
        .value_kind:     by_value
      - .offset:         112
        .size:           1
        .value_kind:     by_value
      - .offset:         120
        .size:           8
        .value_kind:     by_value
      - .offset:         128
        .size:           4
        .value_kind:     hidden_block_count_x
      - .offset:         132
        .size:           4
        .value_kind:     hidden_block_count_y
      - .offset:         136
        .size:           4
        .value_kind:     hidden_block_count_z
      - .offset:         140
        .size:           2
        .value_kind:     hidden_group_size_x
      - .offset:         142
        .size:           2
        .value_kind:     hidden_group_size_y
      - .offset:         144
        .size:           2
        .value_kind:     hidden_group_size_z
      - .offset:         146
        .size:           2
        .value_kind:     hidden_remainder_x
      - .offset:         148
        .size:           2
        .value_kind:     hidden_remainder_y
      - .offset:         150
        .size:           2
        .value_kind:     hidden_remainder_z
      - .offset:         168
        .size:           8
        .value_kind:     hidden_global_offset_x
      - .offset:         176
        .size:           8
        .value_kind:     hidden_global_offset_y
      - .offset:         184
        .size:           8
        .value_kind:     hidden_global_offset_z
      - .offset:         192
        .size:           2
        .value_kind:     hidden_grid_dims
    .group_segment_fixed_size: 0
    .kernarg_segment_align: 8
    .kernarg_segment_size: 384
    .language:       OpenCL C
    .language_version:
      - 2
      - 0
    .max_flat_workgroup_size: 1024
    .name:           TransformersAmpAdamWContiguousWithStep
    .private_segment_fixed_size: 0
    .sgpr_count:     91
    .sgpr_spill_count: 0
    .symbol:         TransformersAmpAdamWContiguousWithStep.kd
    .uniform_work_group_size: 1
    .uses_dynamic_stack: false
    .vgpr_count:     32
    .vgpr_spill_count: 0
    .wavefront_size: 32
    .workgroup_processor_mode: 1
amdhsa.target:   amdgcn-amd-amdhsa--gfx1100
amdhsa.version:
  - 1
  - 2
...

	.end_amdgpu_metadata
